;; amdgpu-corpus repo=ROCm/rocFFT kind=compiled arch=gfx1201 opt=O3
	.text
	.amdgcn_target "amdgcn-amd-amdhsa--gfx1201"
	.amdhsa_code_object_version 6
	.protected	fft_rtc_fwd_len1200_factors_5_5_16_3_wgs_225_tpt_75_halfLds_sp_op_CI_CI_unitstride_sbrr_R2C_dirReg ; -- Begin function fft_rtc_fwd_len1200_factors_5_5_16_3_wgs_225_tpt_75_halfLds_sp_op_CI_CI_unitstride_sbrr_R2C_dirReg
	.globl	fft_rtc_fwd_len1200_factors_5_5_16_3_wgs_225_tpt_75_halfLds_sp_op_CI_CI_unitstride_sbrr_R2C_dirReg
	.p2align	8
	.type	fft_rtc_fwd_len1200_factors_5_5_16_3_wgs_225_tpt_75_halfLds_sp_op_CI_CI_unitstride_sbrr_R2C_dirReg,@function
fft_rtc_fwd_len1200_factors_5_5_16_3_wgs_225_tpt_75_halfLds_sp_op_CI_CI_unitstride_sbrr_R2C_dirReg: ; @fft_rtc_fwd_len1200_factors_5_5_16_3_wgs_225_tpt_75_halfLds_sp_op_CI_CI_unitstride_sbrr_R2C_dirReg
; %bb.0:
	s_load_b128 s[8:11], s[0:1], 0x0
	v_mul_u32_u24_e32 v1, 0x36a, v0
	s_clause 0x1
	s_load_b128 s[4:7], s[0:1], 0x58
	s_load_b128 s[12:15], s[0:1], 0x18
	v_mov_b32_e32 v5, 0
	v_lshrrev_b32_e32 v3, 16, v1
	v_mov_b32_e32 v1, 0
	v_mov_b32_e32 v2, 0
	s_delay_alu instid0(VALU_DEP_3) | instskip(NEXT) | instid1(VALU_DEP_2)
	v_mad_co_u64_u32 v[3:4], null, ttmp9, 3, v[3:4]
	v_dual_mov_b32 v4, v5 :: v_dual_mov_b32 v29, v2
	s_delay_alu instid0(VALU_DEP_1) | instskip(NEXT) | instid1(VALU_DEP_3)
	v_dual_mov_b32 v28, v1 :: v_dual_mov_b32 v35, v4
	v_mov_b32_e32 v34, v3
	s_wait_kmcnt 0x0
	v_cmp_lt_u64_e64 s2, s[10:11], 2
	s_delay_alu instid0(VALU_DEP_1)
	s_and_b32 vcc_lo, exec_lo, s2
	s_cbranch_vccnz .LBB0_8
; %bb.1:
	s_load_b64 s[2:3], s[0:1], 0x10
	v_dual_mov_b32 v1, 0 :: v_dual_mov_b32 v8, v4
	v_dual_mov_b32 v2, 0 :: v_dual_mov_b32 v7, v3
	s_add_nc_u64 s[16:17], s[14:15], 8
	s_add_nc_u64 s[18:19], s[12:13], 8
	s_mov_b64 s[20:21], 1
	s_delay_alu instid0(VALU_DEP_1)
	v_dual_mov_b32 v29, v2 :: v_dual_mov_b32 v28, v1
	s_wait_kmcnt 0x0
	s_add_nc_u64 s[22:23], s[2:3], 8
	s_mov_b32 s3, 0
.LBB0_2:                                ; =>This Inner Loop Header: Depth=1
	s_load_b64 s[24:25], s[22:23], 0x0
                                        ; implicit-def: $vgpr34_vgpr35
	s_mov_b32 s2, exec_lo
	s_wait_kmcnt 0x0
	v_or_b32_e32 v6, s25, v8
	s_delay_alu instid0(VALU_DEP_1)
	v_cmpx_ne_u64_e32 0, v[5:6]
	s_wait_alu 0xfffe
	s_xor_b32 s26, exec_lo, s2
	s_cbranch_execz .LBB0_4
; %bb.3:                                ;   in Loop: Header=BB0_2 Depth=1
	s_cvt_f32_u32 s2, s24
	s_cvt_f32_u32 s27, s25
	s_sub_nc_u64 s[30:31], 0, s[24:25]
	s_wait_alu 0xfffe
	s_delay_alu instid0(SALU_CYCLE_1) | instskip(SKIP_1) | instid1(SALU_CYCLE_2)
	s_fmamk_f32 s2, s27, 0x4f800000, s2
	s_wait_alu 0xfffe
	v_s_rcp_f32 s2, s2
	s_delay_alu instid0(TRANS32_DEP_1) | instskip(SKIP_1) | instid1(SALU_CYCLE_2)
	s_mul_f32 s2, s2, 0x5f7ffffc
	s_wait_alu 0xfffe
	s_mul_f32 s27, s2, 0x2f800000
	s_wait_alu 0xfffe
	s_delay_alu instid0(SALU_CYCLE_2) | instskip(SKIP_1) | instid1(SALU_CYCLE_2)
	s_trunc_f32 s27, s27
	s_wait_alu 0xfffe
	s_fmamk_f32 s2, s27, 0xcf800000, s2
	s_cvt_u32_f32 s29, s27
	s_wait_alu 0xfffe
	s_delay_alu instid0(SALU_CYCLE_1) | instskip(SKIP_1) | instid1(SALU_CYCLE_2)
	s_cvt_u32_f32 s28, s2
	s_wait_alu 0xfffe
	s_mul_u64 s[34:35], s[30:31], s[28:29]
	s_wait_alu 0xfffe
	s_mul_hi_u32 s37, s28, s35
	s_mul_i32 s36, s28, s35
	s_mul_hi_u32 s2, s28, s34
	s_mul_i32 s33, s29, s34
	s_wait_alu 0xfffe
	s_add_nc_u64 s[36:37], s[2:3], s[36:37]
	s_mul_hi_u32 s27, s29, s34
	s_mul_hi_u32 s38, s29, s35
	s_add_co_u32 s2, s36, s33
	s_wait_alu 0xfffe
	s_add_co_ci_u32 s2, s37, s27
	s_mul_i32 s34, s29, s35
	s_add_co_ci_u32 s35, s38, 0
	s_wait_alu 0xfffe
	s_add_nc_u64 s[34:35], s[2:3], s[34:35]
	s_wait_alu 0xfffe
	v_add_co_u32 v4, s2, s28, s34
	s_delay_alu instid0(VALU_DEP_1) | instskip(SKIP_1) | instid1(VALU_DEP_1)
	s_cmp_lg_u32 s2, 0
	s_add_co_ci_u32 s29, s29, s35
	v_readfirstlane_b32 s28, v4
	s_wait_alu 0xfffe
	s_delay_alu instid0(VALU_DEP_1)
	s_mul_u64 s[30:31], s[30:31], s[28:29]
	s_wait_alu 0xfffe
	s_mul_hi_u32 s35, s28, s31
	s_mul_i32 s34, s28, s31
	s_mul_hi_u32 s2, s28, s30
	s_mul_i32 s33, s29, s30
	s_wait_alu 0xfffe
	s_add_nc_u64 s[34:35], s[2:3], s[34:35]
	s_mul_hi_u32 s27, s29, s30
	s_mul_hi_u32 s28, s29, s31
	s_wait_alu 0xfffe
	s_add_co_u32 s2, s34, s33
	s_add_co_ci_u32 s2, s35, s27
	s_mul_i32 s30, s29, s31
	s_add_co_ci_u32 s31, s28, 0
	s_wait_alu 0xfffe
	s_add_nc_u64 s[30:31], s[2:3], s[30:31]
	s_wait_alu 0xfffe
	v_add_co_u32 v4, s2, v4, s30
	s_delay_alu instid0(VALU_DEP_1) | instskip(SKIP_1) | instid1(VALU_DEP_1)
	s_cmp_lg_u32 s2, 0
	s_add_co_ci_u32 s2, s29, s31
	v_mul_hi_u32 v6, v7, v4
	s_wait_alu 0xfffe
	v_mad_co_u64_u32 v[9:10], null, v7, s2, 0
	v_mad_co_u64_u32 v[11:12], null, v8, v4, 0
	;; [unrolled: 1-line block ×3, first 2 shown]
	s_delay_alu instid0(VALU_DEP_3) | instskip(SKIP_1) | instid1(VALU_DEP_4)
	v_add_co_u32 v4, vcc_lo, v6, v9
	s_wait_alu 0xfffd
	v_add_co_ci_u32_e32 v6, vcc_lo, 0, v10, vcc_lo
	s_delay_alu instid0(VALU_DEP_2) | instskip(SKIP_1) | instid1(VALU_DEP_2)
	v_add_co_u32 v4, vcc_lo, v4, v11
	s_wait_alu 0xfffd
	v_add_co_ci_u32_e32 v4, vcc_lo, v6, v12, vcc_lo
	s_wait_alu 0xfffd
	v_add_co_ci_u32_e32 v6, vcc_lo, 0, v14, vcc_lo
	s_delay_alu instid0(VALU_DEP_2) | instskip(SKIP_1) | instid1(VALU_DEP_2)
	v_add_co_u32 v4, vcc_lo, v4, v13
	s_wait_alu 0xfffd
	v_add_co_ci_u32_e32 v6, vcc_lo, 0, v6, vcc_lo
	s_delay_alu instid0(VALU_DEP_2) | instskip(SKIP_1) | instid1(VALU_DEP_3)
	v_mul_lo_u32 v11, s25, v4
	v_mad_co_u64_u32 v[9:10], null, s24, v4, 0
	v_mul_lo_u32 v12, s24, v6
	s_delay_alu instid0(VALU_DEP_2) | instskip(NEXT) | instid1(VALU_DEP_2)
	v_sub_co_u32 v9, vcc_lo, v7, v9
	v_add3_u32 v10, v10, v12, v11
	s_delay_alu instid0(VALU_DEP_1) | instskip(SKIP_1) | instid1(VALU_DEP_1)
	v_sub_nc_u32_e32 v11, v8, v10
	s_wait_alu 0xfffd
	v_subrev_co_ci_u32_e64 v11, s2, s25, v11, vcc_lo
	v_add_co_u32 v12, s2, v4, 2
	s_wait_alu 0xf1ff
	v_add_co_ci_u32_e64 v13, s2, 0, v6, s2
	v_sub_co_u32 v14, s2, v9, s24
	v_sub_co_ci_u32_e32 v10, vcc_lo, v8, v10, vcc_lo
	s_wait_alu 0xf1ff
	v_subrev_co_ci_u32_e64 v11, s2, 0, v11, s2
	s_delay_alu instid0(VALU_DEP_3) | instskip(NEXT) | instid1(VALU_DEP_3)
	v_cmp_le_u32_e32 vcc_lo, s24, v14
	v_cmp_eq_u32_e64 s2, s25, v10
	s_wait_alu 0xfffd
	v_cndmask_b32_e64 v14, 0, -1, vcc_lo
	v_cmp_le_u32_e32 vcc_lo, s25, v11
	s_wait_alu 0xfffd
	v_cndmask_b32_e64 v15, 0, -1, vcc_lo
	v_cmp_le_u32_e32 vcc_lo, s24, v9
	;; [unrolled: 3-line block ×3, first 2 shown]
	s_wait_alu 0xfffd
	v_cndmask_b32_e64 v16, 0, -1, vcc_lo
	v_cmp_eq_u32_e32 vcc_lo, s25, v11
	s_wait_alu 0xf1ff
	s_delay_alu instid0(VALU_DEP_2)
	v_cndmask_b32_e64 v9, v16, v9, s2
	s_wait_alu 0xfffd
	v_cndmask_b32_e32 v11, v15, v14, vcc_lo
	v_add_co_u32 v14, vcc_lo, v4, 1
	s_wait_alu 0xfffd
	v_add_co_ci_u32_e32 v15, vcc_lo, 0, v6, vcc_lo
	s_delay_alu instid0(VALU_DEP_3) | instskip(SKIP_1) | instid1(VALU_DEP_2)
	v_cmp_ne_u32_e32 vcc_lo, 0, v11
	s_wait_alu 0xfffd
	v_dual_cndmask_b32 v10, v15, v13 :: v_dual_cndmask_b32 v11, v14, v12
	v_cmp_ne_u32_e32 vcc_lo, 0, v9
	s_wait_alu 0xfffd
	s_delay_alu instid0(VALU_DEP_2)
	v_dual_cndmask_b32 v35, v6, v10 :: v_dual_cndmask_b32 v34, v4, v11
.LBB0_4:                                ;   in Loop: Header=BB0_2 Depth=1
	s_wait_alu 0xfffe
	s_and_not1_saveexec_b32 s2, s26
	s_cbranch_execz .LBB0_6
; %bb.5:                                ;   in Loop: Header=BB0_2 Depth=1
	v_cvt_f32_u32_e32 v4, s24
	s_sub_co_i32 s26, 0, s24
	v_mov_b32_e32 v35, v5
	s_delay_alu instid0(VALU_DEP_2) | instskip(NEXT) | instid1(TRANS32_DEP_1)
	v_rcp_iflag_f32_e32 v4, v4
	v_mul_f32_e32 v4, 0x4f7ffffe, v4
	s_delay_alu instid0(VALU_DEP_1) | instskip(SKIP_1) | instid1(VALU_DEP_1)
	v_cvt_u32_f32_e32 v4, v4
	s_wait_alu 0xfffe
	v_mul_lo_u32 v6, s26, v4
	s_delay_alu instid0(VALU_DEP_1) | instskip(NEXT) | instid1(VALU_DEP_1)
	v_mul_hi_u32 v6, v4, v6
	v_add_nc_u32_e32 v4, v4, v6
	s_delay_alu instid0(VALU_DEP_1) | instskip(NEXT) | instid1(VALU_DEP_1)
	v_mul_hi_u32 v4, v7, v4
	v_mul_lo_u32 v6, v4, s24
	s_delay_alu instid0(VALU_DEP_1) | instskip(NEXT) | instid1(VALU_DEP_1)
	v_sub_nc_u32_e32 v6, v7, v6
	v_subrev_nc_u32_e32 v10, s24, v6
	v_cmp_le_u32_e32 vcc_lo, s24, v6
	s_wait_alu 0xfffd
	s_delay_alu instid0(VALU_DEP_2) | instskip(NEXT) | instid1(VALU_DEP_1)
	v_dual_cndmask_b32 v6, v6, v10 :: v_dual_add_nc_u32 v9, 1, v4
	v_cndmask_b32_e32 v4, v4, v9, vcc_lo
	s_delay_alu instid0(VALU_DEP_2) | instskip(NEXT) | instid1(VALU_DEP_2)
	v_cmp_le_u32_e32 vcc_lo, s24, v6
	v_add_nc_u32_e32 v9, 1, v4
	s_wait_alu 0xfffd
	s_delay_alu instid0(VALU_DEP_1)
	v_cndmask_b32_e32 v34, v4, v9, vcc_lo
.LBB0_6:                                ;   in Loop: Header=BB0_2 Depth=1
	s_wait_alu 0xfffe
	s_or_b32 exec_lo, exec_lo, s2
	v_mul_lo_u32 v4, v35, s24
	s_delay_alu instid0(VALU_DEP_2)
	v_mul_lo_u32 v6, v34, s25
	s_load_b64 s[26:27], s[18:19], 0x0
	v_mad_co_u64_u32 v[9:10], null, v34, s24, 0
	s_load_b64 s[24:25], s[16:17], 0x0
	s_add_nc_u64 s[20:21], s[20:21], 1
	s_add_nc_u64 s[16:17], s[16:17], 8
	s_wait_alu 0xfffe
	v_cmp_ge_u64_e64 s2, s[20:21], s[10:11]
	s_add_nc_u64 s[18:19], s[18:19], 8
	s_add_nc_u64 s[22:23], s[22:23], 8
	v_add3_u32 v4, v10, v6, v4
	v_sub_co_u32 v6, vcc_lo, v7, v9
	s_wait_alu 0xfffd
	s_delay_alu instid0(VALU_DEP_2) | instskip(SKIP_2) | instid1(VALU_DEP_1)
	v_sub_co_ci_u32_e32 v4, vcc_lo, v8, v4, vcc_lo
	s_and_b32 vcc_lo, exec_lo, s2
	s_wait_kmcnt 0x0
	v_mul_lo_u32 v7, s26, v4
	v_mul_lo_u32 v8, s27, v6
	v_mad_co_u64_u32 v[1:2], null, s26, v6, v[1:2]
	v_mul_lo_u32 v4, s24, v4
	v_mul_lo_u32 v9, s25, v6
	v_mad_co_u64_u32 v[28:29], null, s24, v6, v[28:29]
	s_delay_alu instid0(VALU_DEP_4) | instskip(NEXT) | instid1(VALU_DEP_2)
	v_add3_u32 v2, v8, v2, v7
	v_add3_u32 v29, v9, v29, v4
	s_wait_alu 0xfffe
	s_cbranch_vccnz .LBB0_8
; %bb.7:                                ;   in Loop: Header=BB0_2 Depth=1
	v_dual_mov_b32 v7, v34 :: v_dual_mov_b32 v8, v35
	s_branch .LBB0_2
.LBB0_8:
	s_load_b64 s[0:1], s[0:1], 0x28
	v_mul_hi_u32 v4, 0xaaaaaaab, v3
	s_lshl_b64 s[10:11], s[10:11], 3
                                        ; implicit-def: $vgpr30
                                        ; implicit-def: $vgpr32
                                        ; implicit-def: $vgpr38
                                        ; implicit-def: $vgpr36
	s_delay_alu instid0(VALU_DEP_1) | instskip(NEXT) | instid1(VALU_DEP_1)
	v_lshrrev_b32_e32 v4, 1, v4
	v_lshl_add_u32 v5, v4, 1, v4
	v_mul_hi_u32 v4, 0x369d037, v0
	s_delay_alu instid0(VALU_DEP_2) | instskip(SKIP_3) | instid1(VALU_DEP_1)
	v_sub_nc_u32_e32 v3, v3, v5
	s_wait_kmcnt 0x0
	v_cmp_gt_u64_e32 vcc_lo, s[0:1], v[34:35]
	v_cmp_le_u64_e64 s0, s[0:1], v[34:35]
	s_and_saveexec_b32 s1, s0
	s_wait_alu 0xfffe
	s_xor_b32 s0, exec_lo, s1
; %bb.9:
	v_mul_u32_u24_e32 v1, 0x4b, v4
                                        ; implicit-def: $vgpr4
	s_delay_alu instid0(VALU_DEP_1) | instskip(NEXT) | instid1(VALU_DEP_1)
	v_sub_nc_u32_e32 v30, v0, v1
                                        ; implicit-def: $vgpr0
                                        ; implicit-def: $vgpr1_vgpr2
	v_add_nc_u32_e32 v32, 0x4b, v30
	v_add_nc_u32_e32 v38, 0x96, v30
	;; [unrolled: 1-line block ×3, first 2 shown]
; %bb.10:
	s_wait_alu 0xfffe
	s_or_saveexec_b32 s1, s0
	v_mul_u32_u24_e32 v37, 0x4b1, v3
	s_add_nc_u64 s[2:3], s[14:15], s[10:11]
	s_delay_alu instid0(VALU_DEP_1)
	v_lshlrev_b32_e32 v56, 3, v37
	s_wait_alu 0xfffe
	s_xor_b32 exec_lo, exec_lo, s1
	s_cbranch_execz .LBB0_12
; %bb.11:
	s_add_nc_u64 s[10:11], s[12:13], s[10:11]
	v_lshlrev_b64_e32 v[1:2], 3, v[1:2]
	s_load_b64 s[10:11], s[10:11], 0x0
	s_wait_kmcnt 0x0
	v_mul_lo_u32 v3, s11, v34
	v_mul_lo_u32 v7, s10, v35
	v_mad_co_u64_u32 v[5:6], null, s10, v34, 0
	s_delay_alu instid0(VALU_DEP_1) | instskip(SKIP_1) | instid1(VALU_DEP_2)
	v_add3_u32 v6, v6, v7, v3
	v_mul_u32_u24_e32 v7, 0x4b, v4
	v_lshlrev_b64_e32 v[3:4], 3, v[5:6]
	s_delay_alu instid0(VALU_DEP_2) | instskip(NEXT) | instid1(VALU_DEP_1)
	v_sub_nc_u32_e32 v30, v0, v7
	v_lshlrev_b32_e32 v31, 3, v30
	s_delay_alu instid0(VALU_DEP_3) | instskip(SKIP_1) | instid1(VALU_DEP_4)
	v_add_co_u32 v0, s0, s4, v3
	s_wait_alu 0xf1ff
	v_add_co_ci_u32_e64 v3, s0, s5, v4, s0
	v_add_nc_u32_e32 v32, 0x4b, v30
	s_delay_alu instid0(VALU_DEP_3) | instskip(SKIP_1) | instid1(VALU_DEP_3)
	v_add_co_u32 v0, s0, v0, v1
	s_wait_alu 0xf1ff
	v_add_co_ci_u32_e64 v1, s0, v3, v2, s0
	v_add_nc_u32_e32 v38, 0x96, v30
	s_delay_alu instid0(VALU_DEP_3) | instskip(SKIP_1) | instid1(VALU_DEP_3)
	v_add_co_u32 v0, s0, v0, v31
	s_wait_alu 0xf1ff
	v_add_co_ci_u32_e64 v1, s0, 0, v1, s0
	s_clause 0xf
	global_load_b64 v[2:3], v[0:1], off
	global_load_b64 v[4:5], v[0:1], off offset:600
	global_load_b64 v[6:7], v[0:1], off offset:1200
	;; [unrolled: 1-line block ×15, first 2 shown]
	v_add3_u32 v31, 0, v56, v31
	v_add_nc_u32_e32 v36, 0xe1, v30
	s_delay_alu instid0(VALU_DEP_2)
	v_add_nc_u32_e32 v33, 0x800, v31
	v_add_nc_u32_e32 v43, 0xc00, v31
	;; [unrolled: 1-line block ×6, first 2 shown]
	s_wait_loadcnt 0xe
	ds_store_2addr_b64 v31, v[2:3], v[4:5] offset1:75
	s_wait_loadcnt 0xc
	ds_store_2addr_b64 v31, v[6:7], v[8:9] offset0:150 offset1:225
	s_wait_loadcnt 0xa
	ds_store_2addr_b64 v33, v[10:11], v[12:13] offset0:44 offset1:119
	;; [unrolled: 2-line block ×7, first 2 shown]
.LBB0_12:
	s_or_b32 exec_lo, exec_lo, s1
	v_lshlrev_b32_e32 v31, 3, v30
	s_load_b64 s[2:3], s[2:3], 0x0
	global_wb scope:SCOPE_SE
	s_wait_dscnt 0x0
	s_wait_kmcnt 0x0
	s_barrier_signal -1
	s_barrier_wait -1
	v_add_nc_u32_e32 v55, 0, v31
	global_inv scope:SCOPE_SE
	v_cmp_gt_u32_e64 s0, 15, v30
	v_add_nc_u32_e32 v33, v55, v56
	ds_load_2addr_b64 v[0:3], v33 offset0:225 offset1:240
	v_add_nc_u32_e32 v53, 0, v56
	v_add_nc_u32_e32 v11, 0x1000, v33
	s_delay_alu instid0(VALU_DEP_2)
	v_add_nc_u32_e32 v54, v53, v31
	ds_load_b64 v[8:9], v54
	s_wait_dscnt 0x0
	v_dual_add_f32 v39, v9, v3 :: v_dual_add_nc_u32 v10, 0x800, v33
	v_dual_add_f32 v27, v8, v2 :: v_dual_add_nc_u32 v16, 0x1800, v33
	ds_load_2addr_b64 v[12:15], v10 offset0:209 offset1:224
	ds_load_2addr_b64 v[17:20], v11 offset0:193 offset1:208
	;; [unrolled: 1-line block ×4, first 2 shown]
	s_wait_dscnt 0x2
	v_dual_add_f32 v27, v27, v14 :: v_dual_add_f32 v40, v14, v19
	s_wait_dscnt 0x1
	v_add_f32_e32 v67, v2, v23
	v_dual_sub_f32 v68, v14, v2 :: v_dual_add_nc_u32 v41, 0x2000, v33
	v_add_f32_e32 v70, v15, v20
	v_sub_f32_e32 v50, v3, v24
	v_dual_sub_f32 v51, v15, v20 :: v_dual_sub_f32 v52, v2, v14
	v_sub_f32_e32 v2, v2, v23
	v_sub_f32_e32 v69, v19, v23
	v_add_f32_e32 v39, v39, v15
	v_dual_sub_f32 v73, v14, v19 :: v_dual_add_f32 v14, v3, v24
	v_fma_f32 v65, -0.5, v40, v8
	v_fma_f32 v8, -0.5, v67, v8
	ds_load_b64 v[25:26], v33 offset:9480
	ds_load_2addr_b64 v[42:45], v10 offset0:59 offset1:134
	v_sub_f32_e32 v66, v23, v19
	ds_load_2addr_b64 v[46:49], v11 offset0:43 offset1:118
	ds_load_2addr_b64 v[57:60], v16 offset0:27 offset1:102
	;; [unrolled: 1-line block ×3, first 2 shown]
	v_dual_add_f32 v40, v68, v69 :: v_dual_add_f32 v39, v39, v20
	v_fmamk_f32 v69, v51, 0xbf737871, v8
	v_fmac_f32_e32 v8, 0x3f737871, v51
	global_wb scope:SCOPE_SE
	s_wait_dscnt 0x0
	s_barrier_signal -1
	v_add_f32_e32 v72, v39, v24
	s_barrier_wait -1
	v_dual_fmac_f32 v8, 0xbf167918, v50 :: v_dual_add_f32 v19, v27, v19
	v_add_f32_e32 v27, v52, v66
	v_fma_f32 v66, -0.5, v70, v9
	v_fmamk_f32 v67, v50, 0x3f737871, v65
	v_fmac_f32_e32 v65, 0xbf737871, v50
	v_dual_fmac_f32 v9, -0.5, v14 :: v_dual_fmac_f32 v8, 0x3e9e377a, v40
	s_delay_alu instid0(VALU_DEP_4) | instskip(SKIP_2) | instid1(VALU_DEP_4)
	v_fmamk_f32 v68, v2, 0xbf737871, v66
	v_dual_fmac_f32 v66, 0x3f737871, v2 :: v_dual_add_f32 v71, v19, v23
	v_fmac_f32_e32 v67, 0x3f167918, v51
	v_dual_sub_f32 v19, v3, v15 :: v_dual_fmamk_f32 v70, v73, 0x3f737871, v9
	v_dual_sub_f32 v3, v15, v3 :: v_dual_sub_f32 v14, v20, v24
	v_fmac_f32_e32 v65, 0xbf167918, v51
	v_add_f32_e32 v15, v46, v57
	v_dual_fmac_f32 v66, 0x3f167918, v73 :: v_dual_sub_f32 v23, v24, v20
	v_dual_fmac_f32 v67, 0x3e9e377a, v27 :: v_dual_sub_f32 v24, v43, v62
	v_fmac_f32_e32 v70, 0xbf167918, v2
	v_fmac_f32_e32 v65, 0x3e9e377a, v27
	v_add_f32_e32 v3, v3, v14
	v_add_f32_e32 v20, v4, v42
	v_fma_f32 v14, -0.5, v15, v4
	v_add_f32_e32 v19, v19, v23
	v_sub_f32_e32 v23, v42, v46
	v_dual_sub_f32 v27, v61, v57 :: v_dual_fmac_f32 v70, 0x3e9e377a, v3
	v_fmac_f32_e32 v9, 0xbf737871, v73
	v_add_f32_e32 v39, v42, v61
	s_delay_alu instid0(VALU_DEP_3)
	v_dual_fmac_f32 v68, 0xbf167918, v73 :: v_dual_add_f32 v27, v23, v27
	v_add_f32_e32 v15, v20, v46
	v_fmac_f32_e32 v69, 0x3f167918, v50
	v_sub_f32_e32 v20, v47, v58
	v_fmac_f32_e32 v9, 0x3f167918, v2
	v_fmac_f32_e32 v68, 0x3e9e377a, v19
	s_delay_alu instid0(VALU_DEP_4)
	v_dual_add_f32 v2, v15, v57 :: v_dual_fmac_f32 v69, 0x3e9e377a, v40
	v_sub_f32_e32 v40, v43, v47
	v_fma_f32 v4, -0.5, v39, v4
	v_fmac_f32_e32 v66, 0x3e9e377a, v19
	v_fmamk_f32 v19, v24, 0x3f737871, v14
	v_dual_add_f32 v23, v2, v61 :: v_dual_fmac_f32 v14, 0xbf737871, v24
	s_delay_alu instid0(VALU_DEP_4) | instskip(SKIP_2) | instid1(VALU_DEP_4)
	v_dual_fmamk_f32 v73, v20, 0xbf737871, v4 :: v_dual_sub_f32 v2, v46, v42
	v_fmac_f32_e32 v4, 0x3f737871, v20
	v_fmac_f32_e32 v9, 0x3e9e377a, v3
	v_dual_sub_f32 v3, v57, v61 :: v_dual_fmac_f32 v14, 0xbf167918, v20
	v_add_f32_e32 v15, v5, v43
	v_add_f32_e32 v39, v47, v58
	s_delay_alu instid0(VALU_DEP_3)
	v_dual_fmac_f32 v73, 0x3f167918, v24 :: v_dual_add_f32 v2, v2, v3
	v_fmac_f32_e32 v4, 0xbf167918, v24
	v_dual_add_f32 v24, v43, v62 :: v_dual_fmac_f32 v19, 0x3f167918, v20
	v_add_f32_e32 v3, v15, v47
	v_fma_f32 v15, -0.5, v39, v5
	v_sub_f32_e32 v39, v42, v61
	v_sub_f32_e32 v42, v62, v58
	v_dual_fmac_f32 v4, 0x3e9e377a, v2 :: v_dual_fmac_f32 v19, 0x3e9e377a, v27
	v_dual_fmac_f32 v14, 0x3e9e377a, v27 :: v_dual_sub_f32 v27, v46, v57
	v_fma_f32 v5, -0.5, v24, v5
	v_fmac_f32_e32 v73, 0x3e9e377a, v2
	v_add_f32_e32 v2, v40, v42
	v_add_f32_e32 v42, v48, v59
	v_sub_f32_e32 v46, v45, v64
	v_fmamk_f32 v74, v27, 0x3f737871, v5
	v_add_f32_e32 v3, v3, v58
	v_sub_f32_e32 v40, v58, v62
	v_fma_f32 v42, -0.5, v42, v6
	global_inv scope:SCOPE_SE
	v_fmac_f32_e32 v74, 0xbf167918, v39
	v_add_f32_e32 v24, v3, v62
	v_sub_f32_e32 v3, v47, v43
	v_fmamk_f32 v57, v46, 0x3f737871, v42
	v_dual_fmac_f32 v42, 0xbf737871, v46 :: v_dual_add_f32 v47, v44, v63
	s_delay_alu instid0(VALU_DEP_3) | instskip(SKIP_1) | instid1(VALU_DEP_3)
	v_add_f32_e32 v3, v3, v40
	v_add_f32_e32 v40, v6, v44
	v_fma_f32 v6, -0.5, v47, v6
	s_delay_alu instid0(VALU_DEP_3) | instskip(SKIP_2) | instid1(VALU_DEP_2)
	v_fmac_f32_e32 v74, 0x3e9e377a, v3
	v_fmamk_f32 v20, v39, 0xbf737871, v15
	v_fmac_f32_e32 v15, 0x3f737871, v39
	v_fmac_f32_e32 v20, 0xbf167918, v27
	s_delay_alu instid0(VALU_DEP_2) | instskip(NEXT) | instid1(VALU_DEP_2)
	v_fmac_f32_e32 v15, 0x3f167918, v27
	v_fmac_f32_e32 v20, 0x3e9e377a, v2
	s_delay_alu instid0(VALU_DEP_2) | instskip(SKIP_1) | instid1(VALU_DEP_2)
	v_dual_fmac_f32 v15, 0x3e9e377a, v2 :: v_dual_add_f32 v2, v40, v48
	v_dual_sub_f32 v40, v44, v48 :: v_dual_fmac_f32 v5, 0xbf737871, v27
	v_dual_sub_f32 v27, v49, v60 :: v_dual_add_f32 v2, v2, v59
	s_delay_alu instid0(VALU_DEP_1) | instskip(SKIP_1) | instid1(VALU_DEP_3)
	v_fmac_f32_e32 v57, 0x3f167918, v27
	v_fmamk_f32 v75, v27, 0xbf737871, v6
	v_dual_add_f32 v61, v2, v63 :: v_dual_sub_f32 v2, v48, v44
	v_fmac_f32_e32 v42, 0xbf167918, v27
	v_fmac_f32_e32 v6, 0x3f737871, v27
	v_dual_sub_f32 v27, v44, v63 :: v_dual_sub_f32 v44, v45, v49
	v_fmac_f32_e32 v5, 0x3f167918, v39
	s_delay_alu instid0(VALU_DEP_3) | instskip(SKIP_1) | instid1(VALU_DEP_3)
	v_dual_sub_f32 v43, v63, v59 :: v_dual_fmac_f32 v6, 0xbf167918, v46
	v_dual_fmac_f32 v75, 0x3f167918, v46 :: v_dual_sub_f32 v46, v64, v60
	v_fmac_f32_e32 v5, 0x3e9e377a, v3
	v_sub_f32_e32 v3, v59, v63
	s_delay_alu instid0(VALU_DEP_1) | instskip(SKIP_1) | instid1(VALU_DEP_2)
	v_add_f32_e32 v2, v2, v3
	v_dual_add_f32 v39, v40, v43 :: v_dual_add_f32 v40, v7, v45
	v_fmac_f32_e32 v6, 0x3e9e377a, v2
	s_delay_alu instid0(VALU_DEP_2) | instskip(NEXT) | instid1(VALU_DEP_1)
	v_dual_fmac_f32 v42, 0x3e9e377a, v39 :: v_dual_add_f32 v3, v40, v49
	v_dual_sub_f32 v40, v48, v59 :: v_dual_add_f32 v3, v3, v60
	s_delay_alu instid0(VALU_DEP_1) | instskip(SKIP_3) | instid1(VALU_DEP_3)
	v_dual_add_f32 v62, v3, v64 :: v_dual_add_f32 v3, v44, v46
	v_add_f32_e32 v43, v49, v60
	v_dual_fmac_f32 v57, 0x3e9e377a, v39 :: v_dual_add_f32 v44, v17, v21
	v_dual_add_f32 v39, v45, v64 :: v_dual_add_f32 v46, v12, v25
	v_fma_f32 v43, -0.5, v43, v7
	s_delay_alu instid0(VALU_DEP_2) | instskip(NEXT) | instid1(VALU_DEP_2)
	v_fmac_f32_e32 v7, -0.5, v39
	v_dual_sub_f32 v39, v60, v64 :: v_dual_fmamk_f32 v58, v27, 0xbf737871, v43
	v_fmac_f32_e32 v43, 0x3f737871, v27
	s_delay_alu instid0(VALU_DEP_3) | instskip(SKIP_1) | instid1(VALU_DEP_4)
	v_fmamk_f32 v76, v40, 0x3f737871, v7
	v_fmac_f32_e32 v7, 0xbf737871, v40
	v_fmac_f32_e32 v58, 0xbf167918, v40
	s_delay_alu instid0(VALU_DEP_4) | instskip(SKIP_1) | instid1(VALU_DEP_3)
	v_fmac_f32_e32 v43, 0x3f167918, v40
	v_add_f32_e32 v40, v0, v12
	v_fmac_f32_e32 v58, 0x3e9e377a, v3
	s_delay_alu instid0(VALU_DEP_3) | instskip(NEXT) | instid1(VALU_DEP_3)
	v_fmac_f32_e32 v43, 0x3e9e377a, v3
	v_add_f32_e32 v3, v40, v17
	v_dual_sub_f32 v40, v12, v17 :: v_dual_fmac_f32 v75, 0x3e9e377a, v2
	v_sub_f32_e32 v2, v49, v45
	v_sub_f32_e32 v45, v25, v21
	s_delay_alu instid0(VALU_DEP_4) | instskip(SKIP_1) | instid1(VALU_DEP_3)
	v_add_f32_e32 v3, v3, v21
	v_fma_f32 v49, -0.5, v46, v0
	v_dual_add_f32 v40, v40, v45 :: v_dual_add_f32 v39, v2, v39
	v_fma_f32 v2, -0.5, v44, v0
	v_sub_f32_e32 v44, v13, v26
	v_fmac_f32_e32 v76, 0xbf167918, v27
	v_fmac_f32_e32 v7, 0x3f167918, v27
	v_sub_f32_e32 v27, v18, v22
	s_delay_alu instid0(VALU_DEP_4) | instskip(SKIP_1) | instid1(VALU_DEP_1)
	v_dual_add_f32 v0, v18, v22 :: v_dual_fmamk_f32 v47, v44, 0x3f737871, v2
	v_dual_fmac_f32 v2, 0xbf737871, v44 :: v_dual_sub_f32 v45, v21, v25
	v_fmac_f32_e32 v2, 0xbf167918, v27
	s_delay_alu instid0(VALU_DEP_1)
	v_fmac_f32_e32 v2, 0x3e9e377a, v40
	v_fmac_f32_e32 v76, 0x3e9e377a, v39
	;; [unrolled: 1-line block ×3, first 2 shown]
	v_add_f32_e32 v39, v3, v25
	v_fma_f32 v3, -0.5, v0, v1
	v_sub_f32_e32 v0, v12, v25
	s_delay_alu instid0(VALU_DEP_1)
	v_fmamk_f32 v48, v0, 0xbf737871, v3
	v_fmac_f32_e32 v47, 0x3f167918, v27
	v_fmamk_f32 v51, v27, 0xbf737871, v49
	v_fmac_f32_e32 v49, 0x3f737871, v27
	v_add_f32_e32 v27, v1, v13
	v_fmac_f32_e32 v3, 0x3f737871, v0
	v_fmac_f32_e32 v47, 0x3e9e377a, v40
	v_sub_f32_e32 v40, v17, v12
	v_fmac_f32_e32 v51, 0x3f167918, v44
	v_add_f32_e32 v25, v27, v18
	v_add_f32_e32 v27, v13, v26
	v_sub_f32_e32 v17, v17, v21
	v_dual_add_f32 v12, v40, v45 :: v_dual_fmac_f32 v49, 0xbf167918, v44
	v_sub_f32_e32 v21, v13, v18
	s_delay_alu instid0(VALU_DEP_3) | instskip(NEXT) | instid1(VALU_DEP_3)
	v_dual_fmac_f32 v1, -0.5, v27 :: v_dual_fmac_f32 v48, 0xbf167918, v17
	v_fmac_f32_e32 v51, 0x3e9e377a, v12
	s_delay_alu instid0(VALU_DEP_4) | instskip(NEXT) | instid1(VALU_DEP_3)
	v_dual_fmac_f32 v49, 0x3e9e377a, v12 :: v_dual_add_f32 v12, v25, v22
	v_dual_sub_f32 v25, v26, v22 :: v_dual_fmamk_f32 v52, v17, 0x3f737871, v1
	v_sub_f32_e32 v13, v18, v13
	v_dual_sub_f32 v18, v22, v26 :: v_dual_fmac_f32 v1, 0xbf737871, v17
	s_delay_alu instid0(VALU_DEP_3) | instskip(SKIP_1) | instid1(VALU_DEP_3)
	v_add_f32_e32 v21, v21, v25
	v_fmac_f32_e32 v3, 0x3f167918, v17
	v_dual_fmac_f32 v52, 0xbf167918, v0 :: v_dual_add_f32 v13, v13, v18
	s_delay_alu instid0(VALU_DEP_4)
	v_dual_fmac_f32 v1, 0x3f167918, v0 :: v_dual_add_f32 v40, v12, v26
	v_mad_u32_u24 v12, v30, 40, v53
	v_mad_i32_i24 v0, v38, 40, 0
	v_fmac_f32_e32 v48, 0x3e9e377a, v21
	v_fmac_f32_e32 v3, 0x3e9e377a, v21
	;; [unrolled: 1-line block ×4, first 2 shown]
	v_mad_i32_i24 v13, v32, 40, v53
	ds_store_2addr_b64 v12, v[71:72], v[67:68] offset1:1
	ds_store_2addr_b64 v12, v[69:70], v[8:9] offset0:2 offset1:3
	ds_store_b64 v12, v[65:66] offset:32
	v_add_nc_u32_e32 v8, v0, v56
	ds_store_2addr_b64 v13, v[23:24], v[19:20] offset1:1
	ds_store_2addr_b64 v13, v[73:74], v[4:5] offset0:2 offset1:3
	ds_store_b64 v13, v[14:15] offset:32
	ds_store_2addr_b64 v8, v[61:62], v[57:58] offset1:1
	ds_store_2addr_b64 v8, v[75:76], v[6:7] offset0:2 offset1:3
	ds_store_b64 v8, v[42:43] offset:32
	s_and_saveexec_b32 s1, s0
	s_cbranch_execz .LBB0_14
; %bb.13:
	v_mul_i32_i24_e32 v4, 40, v36
	v_mov_b32_e32 v50, v1
	s_delay_alu instid0(VALU_DEP_2)
	v_add3_u32 v4, 0, v4, v56
	ds_store_2addr_b64 v4, v[39:40], v[47:48] offset1:1
	ds_store_2addr_b64 v4, v[51:52], v[49:50] offset0:2 offset1:3
	ds_store_b64 v4, v[2:3] offset:32
.LBB0_14:
	s_wait_alu 0xfffe
	s_or_b32 exec_lo, exec_lo, s1
	v_lshlrev_b32_e32 v5, 5, v38
	v_lshlrev_b32_e32 v8, 3, v32
	v_add_nc_u32_e32 v4, 0x400, v33
	v_add_nc_u32_e32 v6, 0x1400, v33
	global_wb scope:SCOPE_SE
	s_wait_dscnt 0x0
	v_sub_nc_u32_e32 v0, v0, v5
	v_add3_u32 v57, 0, v8, v56
	s_barrier_signal -1
	s_barrier_wait -1
	global_inv scope:SCOPE_SE
	v_add_nc_u32_e32 v50, v0, v56
	ds_load_2addr_b64 v[24:27], v4 offset0:112 offset1:187
	ds_load_2addr_b64 v[20:23], v10 offset0:134 offset1:224
	;; [unrolled: 1-line block ×6, first 2 shown]
	ds_load_b64 v[45:46], v54
	ds_load_b64 v[43:44], v57
	;; [unrolled: 1-line block ×3, first 2 shown]
	v_lshlrev_b32_e32 v58, 3, v36
	s_and_saveexec_b32 s1, s0
	s_cbranch_execz .LBB0_16
; %bb.15:
	v_add_nc_u32_e32 v0, 0x1d80, v33
	v_add_nc_u32_e32 v39, 0xe80, v33
	ds_load_2addr_b64 v[0:3], v0 offset0:1 offset1:241
	ds_load_2addr_b64 v[59:62], v39 offset0:1 offset1:241
	v_add3_u32 v39, 0, v58, v56
	ds_load_b64 v[39:40], v39
	s_wait_dscnt 0x1
	v_dual_mov_b32 v49, v0 :: v_dual_mov_b32 v48, v60
	v_dual_mov_b32 v52, v62 :: v_dual_mov_b32 v51, v61
	v_mov_b32_e32 v47, v59
.LBB0_16:
	s_wait_alu 0xfffe
	s_or_b32 exec_lo, exec_lo, s1
	v_and_b32_e32 v0, 0xff, v30
	v_and_b32_e32 v66, 0xff, v38
	s_delay_alu instid0(VALU_DEP_2) | instskip(NEXT) | instid1(VALU_DEP_1)
	v_mul_lo_u16 v59, 0xcd, v0
	v_lshrrev_b16 v60, 10, v59
	s_delay_alu instid0(VALU_DEP_1) | instskip(NEXT) | instid1(VALU_DEP_1)
	v_mul_lo_u16 v59, v60, 5
	v_sub_nc_u16 v59, v30, v59
	s_delay_alu instid0(VALU_DEP_1) | instskip(NEXT) | instid1(VALU_DEP_1)
	v_and_b32_e32 v89, 0xff, v59
	v_lshlrev_b32_e32 v59, 5, v89
	global_load_b128 v[61:64], v59, s[8:9]
	v_and_b32_e32 v65, 0xff, v32
	s_delay_alu instid0(VALU_DEP_1) | instskip(NEXT) | instid1(VALU_DEP_1)
	v_mul_lo_u16 v65, 0xcd, v65
	v_lshrrev_b16 v90, 10, v65
	v_mul_lo_u16 v65, 0xcd, v66
	s_delay_alu instid0(VALU_DEP_2) | instskip(NEXT) | instid1(VALU_DEP_2)
	v_mul_lo_u16 v66, v90, 5
	v_lshrrev_b16 v91, 10, v65
	s_delay_alu instid0(VALU_DEP_2) | instskip(NEXT) | instid1(VALU_DEP_2)
	v_sub_nc_u16 v65, v32, v66
	v_mul_lo_u16 v66, v91, 5
	s_delay_alu instid0(VALU_DEP_2) | instskip(SKIP_1) | instid1(VALU_DEP_3)
	v_and_b32_e32 v92, 0xff, v65
	v_and_b32_e32 v65, 0xffff, v36
	v_sub_nc_u16 v66, v38, v66
	s_delay_alu instid0(VALU_DEP_2) | instskip(NEXT) | instid1(VALU_DEP_2)
	v_mul_u32_u24_e32 v69, 0xcccd, v65
	v_and_b32_e32 v93, 0xff, v66
	s_delay_alu instid0(VALU_DEP_2) | instskip(NEXT) | instid1(VALU_DEP_1)
	v_lshrrev_b32_e32 v69, 18, v69
	v_mul_lo_u16 v73, v69, 5
	s_delay_alu instid0(VALU_DEP_1)
	v_sub_nc_u16 v78, v36, v73
	global_load_b128 v[73:76], v59, s[8:9] offset:16
	s_wait_loadcnt_dscnt 0x107
	v_mul_f32_e32 v96, v64, v23
	v_dual_mul_f32 v64, v64, v22 :: v_dual_lshlrev_b32 v77, 5, v92
	v_mul_f32_e32 v95, v62, v25
	v_mul_f32_e32 v62, v62, v24
	s_delay_alu instid0(VALU_DEP_3)
	v_fmac_f32_e32 v64, v63, v23
	global_load_b128 v[65:68], v77, s[8:9]
	v_lshlrev_b32_e32 v81, 5, v93
	v_fma_f32 v95, v61, v24, -v95
	v_fmac_f32_e32 v62, v61, v25
	v_fma_f32 v61, v63, v22, -v96
	global_load_b128 v[69:72], v81, s[8:9]
	v_and_b32_e32 v60, 0xffff, v60
	v_and_b32_e32 v63, 0xffff, v90
	v_and_b32_e32 v59, 0xffff, v78
	v_and_b32_e32 v90, 0xffff, v91
	v_lshlrev_b32_e32 v89, 3, v89
	v_mad_u32_u24 v60, 0xc8, v60, 0
	v_mad_u32_u24 v63, 0xc8, v63, 0
	v_lshlrev_b32_e32 v91, 3, v92
	global_load_b128 v[77:80], v77, s[8:9] offset:16
	v_add3_u32 v89, v60, v89, v56
	v_add3_u32 v91, v63, v91, v56
	s_wait_loadcnt 0x2
	v_mul_f32_e32 v60, v66, v27
	s_wait_dscnt 0x4
	v_dual_mul_f32 v63, v66, v26 :: v_dual_mul_f32 v66, v68, v17
	v_lshlrev_b32_e32 v94, 5, v59
	v_mul_f32_e32 v68, v68, v16
	global_load_b128 v[81:84], v81, s[8:9] offset:16
	v_fmac_f32_e32 v63, v65, v27
	s_wait_loadcnt 0x2
	v_mul_f32_e32 v27, v21, v70
	s_clause 0x1
	global_load_b128 v[85:88], v94, s[8:9]
	global_load_b128 v[22:25], v94, s[8:9] offset:16
	v_fma_f32 v26, v65, v26, -v60
	v_mul_f32_e32 v60, v20, v70
	v_dual_mul_f32 v65, v19, v72 :: v_dual_lshlrev_b32 v92, 3, v93
	v_mul_f32_e32 v70, v18, v72
	v_fma_f32 v66, v67, v16, -v66
	v_fmac_f32_e32 v68, v67, v17
	v_mul_f32_e32 v67, v74, v13
	v_mul_f32_e32 v72, v74, v12
	;; [unrolled: 1-line block ×4, first 2 shown]
	s_wait_loadcnt 0x3
	v_dual_fmac_f32 v60, v21, v69 :: v_dual_mul_f32 v21, v78, v15
	v_fma_f32 v20, v20, v69, -v27
	v_mul_f32_e32 v27, v78, v14
	s_wait_dscnt 0x3
	v_mul_f32_e32 v69, v9, v80
	v_mul_f32_e32 v78, v8, v80
	v_fma_f32 v18, v18, v71, -v65
	v_fma_f32 v67, v73, v12, -v67
	;; [unrolled: 1-line block ×3, first 2 shown]
	v_mad_u32_u24 v90, 0xc8, v90, 0
	global_wb scope:SCOPE_SE
	s_wait_loadcnt_dscnt 0x0
	s_barrier_signal -1
	s_barrier_wait -1
	global_inv scope:SCOPE_SE
	v_add3_u32 v90, v90, v92, v56
	v_dual_fmac_f32 v27, v77, v15 :: v_dual_add_f32 v14, v46, v62
	v_sub_f32_e32 v93, v63, v68
	v_add_f32_e32 v97, v41, v20
	v_sub_f32_e32 v101, v20, v18
	v_dual_mul_f32 v65, v4, v82 :: v_dual_fmac_f32 v70, v19, v71
	v_mul_f32_e32 v19, v5, v82
	v_dual_mul_f32 v71, v11, v84 :: v_dual_mul_f32 v82, v48, v86
	v_dual_mul_f32 v80, v10, v84 :: v_dual_mul_f32 v17, v47, v86
	v_mul_f32_e32 v84, v52, v88
	v_mul_f32_e32 v16, v51, v88
	v_fmac_f32_e32 v72, v73, v13
	v_fma_f32 v73, v75, v6, -v74
	v_dual_fmac_f32 v76, v75, v7 :: v_dual_fmac_f32 v17, v48, v85
	v_mul_f32_e32 v12, v1, v23
	v_mul_f32_e32 v7, v49, v23
	v_mul_f32_e32 v13, v3, v25
	v_mul_f32_e32 v6, v2, v25
	v_fma_f32 v23, v8, v79, -v69
	v_dual_fmac_f32 v78, v9, v79 :: v_dual_sub_f32 v9, v95, v61
	v_fma_f32 v69, v4, v81, -v19
	v_fmac_f32_e32 v65, v5, v81
	v_fma_f32 v77, v10, v83, -v71
	v_fma_f32 v8, v47, v85, -v82
	;; [unrolled: 1-line block ×3, first 2 shown]
	v_fmac_f32_e32 v16, v52, v87
	v_fma_f32 v4, v49, v22, -v12
	v_fmac_f32_e32 v7, v1, v22
	v_fma_f32 v1, v2, v24, -v13
	v_dual_fmac_f32 v6, v3, v24 :: v_dual_add_f32 v3, v61, v67
	v_dual_add_f32 v2, v45, v95 :: v_dual_sub_f32 v13, v67, v73
	v_dual_sub_f32 v22, v62, v76 :: v_dual_sub_f32 v75, v61, v67
	v_dual_sub_f32 v10, v73, v67 :: v_dual_add_f32 v47, v62, v76
	v_dual_sub_f32 v19, v62, v64 :: v_dual_fmac_f32 v80, v11, v83
	v_add_f32_e32 v15, v64, v72
	v_dual_add_f32 v11, v95, v73 :: v_dual_sub_f32 v12, v61, v95
	v_sub_f32_e32 v51, v72, v76
	v_dual_sub_f32 v24, v76, v72 :: v_dual_sub_f32 v79, v63, v78
	v_dual_sub_f32 v48, v64, v62 :: v_dual_add_f32 v83, v26, v23
	v_dual_add_f32 v52, v43, v26 :: v_dual_sub_f32 v85, v21, v23
	v_dual_add_f32 v62, v66, v21 :: v_dual_add_f32 v87, v68, v27
	v_dual_sub_f32 v49, v64, v72 :: v_dual_sub_f32 v74, v95, v73
	v_sub_f32_e32 v71, v26, v66
	v_dual_sub_f32 v81, v68, v27 :: v_dual_sub_f32 v82, v23, v21
	v_sub_f32_e32 v84, v66, v26
	v_dual_add_f32 v86, v44, v63 :: v_dual_add_f32 v95, v63, v78
	v_sub_f32_e32 v88, v26, v23
	v_sub_f32_e32 v94, v78, v27
	v_dual_sub_f32 v63, v68, v63 :: v_dual_sub_f32 v96, v27, v78
	v_add_f32_e32 v61, v2, v61
	v_dual_add_f32 v98, v18, v69 :: v_dual_add_f32 v103, v9, v10
	v_sub_f32_e32 v102, v77, v69
	v_add_f32_e32 v2, v20, v77
	v_fma_f32 v25, -0.5, v3, v45
	v_fma_f32 v45, -0.5, v11, v45
	v_dual_sub_f32 v3, v18, v20 :: v_dual_add_f32 v104, v12, v13
	v_dual_sub_f32 v9, v69, v77 :: v_dual_add_f32 v64, v14, v64
	v_dual_add_f32 v10, v42, v60 :: v_dual_sub_f32 v105, v20, v77
	v_fma_f32 v26, -0.5, v15, v46
	v_dual_add_f32 v11, v70, v65 :: v_dual_add_f32 v106, v19, v24
	v_dual_sub_f32 v107, v18, v69 :: v_dual_fmac_f32 v46, -0.5, v47
	v_sub_f32_e32 v12, v60, v70
	v_dual_sub_f32 v13, v80, v65 :: v_dual_add_f32 v82, v71, v82
	v_add_f32_e32 v20, v52, v66
	v_add_f32_e32 v14, v60, v80
	v_fma_f32 v47, -0.5, v62, v43
	v_sub_f32_e32 v24, v8, v5
	v_sub_f32_e32 v62, v1, v4
	v_dual_sub_f32 v92, v66, v21 :: v_dual_sub_f32 v99, v60, v80
	v_dual_sub_f32 v100, v70, v65 :: v_dual_sub_f32 v19, v65, v80
	v_dual_add_f32 v108, v48, v51 :: v_dual_sub_f32 v15, v70, v60
	v_fma_f32 v43, -0.5, v83, v43
	v_dual_add_f32 v83, v84, v85 :: v_dual_add_f32 v60, v86, v68
	v_fma_f32 v48, -0.5, v87, v44
	v_sub_f32_e32 v66, v5, v8
	v_add_f32_e32 v84, v93, v94
	v_sub_f32_e32 v68, v4, v1
	v_dual_fmac_f32 v44, -0.5, v95 :: v_dual_sub_f32 v71, v17, v16
	v_add_f32_e32 v85, v63, v96
	v_sub_f32_e32 v63, v6, v7
	v_sub_f32_e32 v93, v7, v6
	v_dual_add_f32 v94, v3, v9 :: v_dual_add_f32 v95, v5, v4
	v_dual_add_f32 v70, v10, v70 :: v_dual_add_f32 v21, v20, v21
	v_fma_f32 v52, -0.5, v11, v42
	v_sub_f32_e32 v3, v16, v7
	v_add_f32_e32 v96, v12, v13
	v_dual_add_f32 v11, v8, v1 :: v_dual_add_f32 v86, v97, v18
	v_sub_f32_e32 v18, v16, v17
	v_dual_fmac_f32 v42, -0.5, v14 :: v_dual_add_f32 v13, v16, v7
	v_add_f32_e32 v14, v24, v62
	v_add_f32_e32 v62, v17, v6
	v_fma_f32 v51, -0.5, v98, v41
	v_fma_f32 v41, -0.5, v2, v41
	v_dual_sub_f32 v2, v17, v6 :: v_dual_add_f32 v27, v60, v27
	v_add_f32_e32 v97, v15, v19
	v_sub_f32_e32 v9, v8, v1
	v_dual_sub_f32 v19, v5, v4 :: v_dual_add_f32 v24, v71, v63
	v_dual_add_f32 v12, v18, v93 :: v_dual_fmamk_f32 v63, v75, 0x3f737871, v46
	v_fma_f32 v10, -0.5, v95, v39
	v_fma_f32 v11, -0.5, v11, v39
	v_fma_f32 v13, -0.5, v13, v40
	v_dual_add_f32 v71, v61, v67 :: v_dual_add_f32 v72, v64, v72
	v_dual_fmamk_f32 v60, v22, 0x3f737871, v25 :: v_dual_fmamk_f32 v67, v92, 0x3f737871, v44
	v_fmac_f32_e32 v25, 0xbf737871, v22
	v_add_f32_e32 v93, v70, v65
	v_fmamk_f32 v61, v74, 0xbf737871, v26
	v_fma_f32 v18, -0.5, v62, v40
	v_fmac_f32_e32 v26, 0x3f737871, v74
	v_fmac_f32_e32 v46, 0xbf737871, v75
	v_fmamk_f32 v64, v79, 0x3f737871, v47
	v_fmac_f32_e32 v47, 0xbf737871, v79
	v_fmamk_f32 v62, v49, 0xbf737871, v45
	v_fmac_f32_e32 v45, 0x3f737871, v49
	v_add_f32_e32 v15, v66, v68
	v_dual_add_f32 v86, v86, v69 :: v_dual_fmamk_f32 v65, v88, 0xbf737871, v48
	v_fmac_f32_e32 v25, 0xbf167918, v49
	s_delay_alu instid0(VALU_DEP_4)
	v_dual_fmac_f32 v45, 0xbf167918, v22 :: v_dual_add_f32 v70, v71, v73
	v_dual_add_f32 v71, v72, v76 :: v_dual_fmac_f32 v62, 0x3f167918, v22
	v_dual_fmamk_f32 v72, v100, 0xbf737871, v41 :: v_dual_fmamk_f32 v69, v105, 0xbf737871, v52
	v_fmac_f32_e32 v41, 0x3f737871, v100
	v_dual_fmamk_f32 v73, v107, 0x3f737871, v42 :: v_dual_add_f32 v76, v86, v77
	v_fmac_f32_e32 v42, 0xbf737871, v107
	v_fmac_f32_e32 v61, 0xbf167918, v75
	;; [unrolled: 1-line block ×4, first 2 shown]
	v_dual_fmamk_f32 v20, v2, 0x3f737871, v10 :: v_dual_add_f32 v75, v27, v78
	v_fmac_f32_e32 v46, 0x3f167918, v74
	v_add_f32_e32 v74, v21, v23
	v_fmamk_f32 v21, v9, 0xbf737871, v13
	v_fmamk_f32 v22, v3, 0xbf737871, v11
	;; [unrolled: 1-line block ×4, first 2 shown]
	v_dual_fmac_f32 v43, 0x3f737871, v81 :: v_dual_fmac_f32 v48, 0x3f737871, v88
	v_fmac_f32_e32 v44, 0xbf737871, v92
	v_fmac_f32_e32 v60, 0x3f167918, v49
	v_fmamk_f32 v68, v99, 0x3f737871, v51
	v_fmac_f32_e32 v51, 0xbf737871, v99
	v_fmac_f32_e32 v52, 0x3f737871, v105
	;; [unrolled: 1-line block ×7, first 2 shown]
	v_dual_add_f32 v77, v93, v80 :: v_dual_fmac_f32 v64, 0x3f167918, v81
	v_fmac_f32_e32 v47, 0xbf167918, v81
	v_fmac_f32_e32 v66, 0x3f167918, v79
	;; [unrolled: 1-line block ×5, first 2 shown]
	v_dual_fmac_f32 v44, 0x3f167918, v88 :: v_dual_add_f32 v87, v101, v102
	v_fmac_f32_e32 v68, 0x3f167918, v100
	v_fmac_f32_e32 v51, 0xbf167918, v100
	;; [unrolled: 1-line block ×8, first 2 shown]
	v_dual_fmac_f32 v60, 0x3e9e377a, v103 :: v_dual_fmac_f32 v45, 0x3e9e377a, v104
	v_dual_fmac_f32 v61, 0x3e9e377a, v106 :: v_dual_fmac_f32 v46, 0x3e9e377a, v108
	;; [unrolled: 1-line block ×14, first 2 shown]
	ds_store_2addr_b64 v89, v[70:71], v[60:61] offset1:5
	ds_store_2addr_b64 v89, v[62:63], v[45:46] offset0:10 offset1:15
	ds_store_b64 v89, v[25:26] offset:160
	ds_store_2addr_b64 v91, v[74:75], v[64:65] offset1:5
	ds_store_2addr_b64 v91, v[66:67], v[43:44] offset0:10 offset1:15
	ds_store_b64 v91, v[47:48] offset:160
	;; [unrolled: 3-line block ×3, first 2 shown]
	s_and_saveexec_b32 s1, s0
	s_cbranch_execz .LBB0_18
; %bb.17:
	v_mul_f32_e32 v25, 0x3f737871, v2
	v_dual_mul_f32 v26, 0x3f167918, v3 :: v_dual_mul_f32 v27, 0x3f167918, v2
	v_dual_mul_f32 v2, 0x3f737871, v9 :: v_dual_mul_f32 v41, 0x3f737871, v19
	v_dual_mul_f32 v24, 0x3e9e377a, v24 :: v_dual_add_f32 v17, v40, v17
	s_delay_alu instid0(VALU_DEP_2) | instskip(NEXT) | instid1(VALU_DEP_3)
	v_dual_mul_f32 v19, 0x3f167918, v19 :: v_dual_add_f32 v2, v13, v2
	v_dual_mul_f32 v3, 0x3f737871, v3 :: v_dual_sub_f32 v18, v18, v41
	s_delay_alu instid0(VALU_DEP_3) | instskip(SKIP_1) | instid1(VALU_DEP_3)
	v_dual_add_f32 v16, v17, v16 :: v_dual_mul_f32 v9, 0x3f167918, v9
	v_and_b32_e32 v42, 0xff, v36
	v_dual_sub_f32 v10, v10, v25 :: v_dual_add_f32 v3, v3, v11
	s_delay_alu instid0(VALU_DEP_3) | instskip(NEXT) | instid1(VALU_DEP_4)
	v_add_f32_e32 v7, v16, v7
	v_add_f32_e32 v9, v9, v18
	s_delay_alu instid0(VALU_DEP_4) | instskip(SKIP_3) | instid1(VALU_DEP_4)
	v_mul_lo_u16 v13, 0xcd, v42
	v_add_f32_e32 v18, v19, v2
	v_add_f32_e32 v19, v39, v8
	v_dual_mul_f32 v12, 0x3e9e377a, v12 :: v_dual_lshlrev_b32 v11, 3, v59
	v_lshrrev_b16 v13, 10, v13
	s_delay_alu instid0(VALU_DEP_3) | instskip(NEXT) | instid1(VALU_DEP_3)
	v_dual_add_f32 v8, v24, v18 :: v_dual_add_f32 v5, v19, v5
	v_add_f32_e32 v2, v12, v9
	s_delay_alu instid0(VALU_DEP_3) | instskip(SKIP_1) | instid1(VALU_DEP_4)
	v_dual_sub_f32 v10, v10, v26 :: v_dual_and_b32 v9, 0xffff, v13
	v_dual_mul_f32 v14, 0x3e9e377a, v14 :: v_dual_mul_f32 v15, 0x3e9e377a, v15
	v_dual_add_f32 v5, v5, v4 :: v_dual_sub_f32 v12, v3, v27
	s_delay_alu instid0(VALU_DEP_3) | instskip(SKIP_1) | instid1(VALU_DEP_4)
	v_mad_u32_u24 v9, 0xc8, v9, 0
	v_add_f32_e32 v4, v7, v6
	v_add_f32_e32 v7, v14, v10
	s_delay_alu instid0(VALU_DEP_4)
	v_add_f32_e32 v3, v5, v1
	v_add_f32_e32 v1, v15, v12
	v_add3_u32 v5, v9, v11, v56
	ds_store_2addr_b64 v5, v[3:4], v[20:21] offset1:5
	ds_store_2addr_b64 v5, v[22:23], v[1:2] offset0:10 offset1:15
	ds_store_b64 v5, v[7:8] offset:160
.LBB0_18:
	s_wait_alu 0xfffe
	s_or_b32 exec_lo, exec_lo, s1
	v_mul_lo_u16 v0, v0, 41
	global_wb scope:SCOPE_SE
	s_wait_dscnt 0x0
	s_barrier_signal -1
	s_barrier_wait -1
	global_inv scope:SCOPE_SE
	v_lshrrev_b16 v3, 10, v0
	v_add3_u32 v49, 0, v58, v56
	v_cmp_gt_u32_e64 s0, 25, v30
	s_delay_alu instid0(VALU_DEP_3) | instskip(NEXT) | instid1(VALU_DEP_1)
	v_mul_lo_u16 v0, v3, 25
	v_sub_nc_u16 v0, v30, v0
	s_delay_alu instid0(VALU_DEP_1) | instskip(NEXT) | instid1(VALU_DEP_1)
	v_and_b32_e32 v19, 0xff, v0
	v_mul_u32_u24_e32 v0, 15, v19
	s_delay_alu instid0(VALU_DEP_1)
	v_lshlrev_b32_e32 v0, 3, v0
	s_clause 0x7
	global_load_b128 v[9:12], v0, s[8:9] offset:160
	global_load_b128 v[13:16], v0, s[8:9] offset:176
	;; [unrolled: 1-line block ×7, first 2 shown]
	global_load_b64 v[1:2], v0, s[8:9] offset:272
	v_add_nc_u32_e32 v0, 0x800, v33
	v_add_nc_u32_e32 v4, 0xc00, v33
	ds_load_b64 v[6:7], v54
	ds_load_b64 v[17:18], v57
	;; [unrolled: 1-line block ×4, first 2 shown]
	ds_load_2addr_b64 v[67:70], v0 offset0:44 offset1:119
	ds_load_2addr_b64 v[71:74], v4 offset0:66 offset1:141
	v_add_nc_u32_e32 v8, 0x1000, v33
	v_add_nc_u32_e32 v58, 0x1400, v33
	;; [unrolled: 1-line block ×4, first 2 shown]
	v_and_b32_e32 v3, 0xffff, v3
	s_wait_loadcnt_dscnt 0x703
	v_dual_mul_f32 v92, v12, v48 :: v_dual_add_nc_u32 v91, 0x1c00, v33
	s_wait_loadcnt_dscnt 0x501
	v_dual_mul_f32 v12, v12, v47 :: v_dual_mul_f32 v95, v70, v25
	s_wait_loadcnt_dscnt 0x400
	v_mul_f32_e32 v97, v74, v40
	ds_load_2addr_b64 v[75:78], v8 offset0:88 offset1:163
	ds_load_2addr_b64 v[79:82], v58 offset0:110 offset1:185
	;; [unrolled: 1-line block ×4, first 2 shown]
	v_dual_mul_f32 v58, v10, v18 :: v_dual_lshlrev_b32 v19, 3, v19
	v_mul_f32_e32 v94, v68, v16
	v_mul_f32_e32 v10, v10, v17
	v_mad_u32_u24 v3, 0xc80, v3, 0
	v_mul_f32_e32 v96, v72, v27
	v_mul_f32_e32 v27, v71, v27
	v_fma_f32 v17, v9, v17, -v58
	v_mul_f32_e32 v25, v69, v25
	v_add3_u32 v3, v3, v19, v56
	v_fmac_f32_e32 v10, v9, v18
	v_fma_f32 v9, v11, v47, -v92
	v_mul_f32_e32 v93, v14, v52
	v_mul_f32_e32 v14, v14, v51
	v_dual_fmac_f32 v25, v70, v24 :: v_dual_add_nc_u32 v56, 0x800, v3
	s_wait_dscnt 0x3
	v_mul_f32_e32 v98, v76, v42
	v_mul_f32_e32 v42, v75, v42
	s_wait_loadcnt_dscnt 0x302
	v_dual_mul_f32 v100, v80, v46 :: v_dual_mul_f32 v99, v78, v44
	v_dual_mul_f32 v44, v77, v44 :: v_dual_fmac_f32 v27, v72, v26
	s_wait_loadcnt 0x2
	v_mul_f32_e32 v101, v82, v60
	s_wait_loadcnt_dscnt 0x101
	v_mul_f32_e32 v103, v86, v64
	v_fma_f32 v18, v71, v26, -v96
	v_fma_f32 v26, v75, v41, -v98
	v_fmac_f32_e32 v42, v76, v41
	v_fma_f32 v41, v79, v45, -v100
	v_dual_mul_f32 v16, v67, v16 :: v_dual_add_nc_u32 v19, 0x400, v3
	s_wait_loadcnt_dscnt 0x0
	v_dual_mul_f32 v40, v73, v40 :: v_dual_mul_f32 v105, v90, v2
	s_delay_alu instid0(VALU_DEP_3)
	v_dual_sub_f32 v41, v9, v41 :: v_dual_fmac_f32 v12, v11, v48
	v_fma_f32 v11, v13, v51, -v93
	v_fmac_f32_e32 v14, v13, v52
	v_fma_f32 v13, v67, v15, -v94
	v_fmac_f32_e32 v40, v74, v39
	v_fma_f32 v47, v85, v63, -v103
	v_fma_f32 v9, v9, 2.0, -v41
	v_fmac_f32_e32 v16, v68, v15
	v_fma_f32 v15, v69, v24, -v95
	v_fma_f32 v24, v73, v39, -v97
	;; [unrolled: 1-line block ×3, first 2 shown]
	v_mul_f32_e32 v46, v79, v46
	s_delay_alu instid0(VALU_DEP_4) | instskip(SKIP_1) | instid1(VALU_DEP_3)
	v_dual_mul_f32 v102, v84, v62 :: v_dual_sub_f32 v47, v15, v47
	v_fmac_f32_e32 v44, v78, v43
	v_dual_sub_f32 v39, v17, v39 :: v_dual_fmac_f32 v46, v80, v45
	s_delay_alu instid0(VALU_DEP_3) | instskip(NEXT) | instid1(VALU_DEP_4)
	v_fma_f32 v45, v83, v61, -v102
	v_fma_f32 v15, v15, 2.0, -v47
	s_delay_alu instid0(VALU_DEP_4)
	v_sub_f32_e32 v44, v10, v44
	v_mul_f32_e32 v2, v89, v2
	v_fma_f32 v17, v17, 2.0, -v39
	v_mul_f32_e32 v60, v81, v60
	v_fma_f32 v43, v81, v59, -v101
	v_mul_f32_e32 v104, v88, v66
	v_fma_f32 v51, v89, v1, -v105
	v_dual_mul_f32 v66, v87, v66 :: v_dual_add_f32 v47, v44, v47
	v_fmac_f32_e32 v2, v90, v1
	v_sub_f32_e32 v1, v6, v26
	v_dual_sub_f32 v15, v17, v15 :: v_dual_sub_f32 v26, v7, v42
	v_dual_sub_f32 v42, v13, v45 :: v_dual_sub_f32 v51, v24, v51
	v_fmac_f32_e32 v66, v88, v65
	s_delay_alu instid0(VALU_DEP_4) | instskip(SKIP_1) | instid1(VALU_DEP_4)
	v_fma_f32 v6, v6, 2.0, -v1
	v_fmac_f32_e32 v60, v82, v59
	v_fma_f32 v13, v13, 2.0, -v42
	v_sub_f32_e32 v43, v11, v43
	v_sub_f32_e32 v52, v27, v66
	v_fma_f32 v48, v87, v65, -v104
	v_fma_f32 v24, v24, 2.0, -v51
	v_dual_sub_f32 v13, v6, v13 :: v_dual_mul_f32 v62, v83, v62
	v_sub_f32_e32 v59, v14, v60
	v_fma_f32 v27, v27, 2.0, -v52
	v_sub_f32_e32 v52, v41, v52
	v_sub_f32_e32 v48, v18, v48
	v_fmac_f32_e32 v62, v84, v61
	v_dual_mul_f32 v64, v85, v64 :: v_dual_add_f32 v51, v59, v51
	v_fma_f32 v14, v14, 2.0, -v59
	s_delay_alu instid0(VALU_DEP_4) | instskip(NEXT) | instid1(VALU_DEP_4)
	v_fma_f32 v18, v18, 2.0, -v48
	v_sub_f32_e32 v45, v16, v62
	v_fma_f32 v6, v6, 2.0, -v13
	v_fma_f32 v10, v10, 2.0, -v44
	;; [unrolled: 1-line block ×5, first 2 shown]
	v_dual_sub_f32 v45, v1, v45 :: v_dual_sub_f32 v46, v12, v46
	s_delay_alu instid0(VALU_DEP_4)
	v_sub_f32_e32 v24, v11, v24
	global_wb scope:SCOPE_SE
	s_barrier_signal -1
	v_fma_f32 v60, v1, 2.0, -v45
	v_fma_f32 v12, v12, 2.0, -v46
	v_dual_add_f32 v48, v46, v48 :: v_dual_sub_f32 v1, v9, v18
	v_fma_f32 v11, v11, 2.0, -v24
	s_barrier_wait -1
	s_delay_alu instid0(VALU_DEP_3) | instskip(SKIP_3) | instid1(VALU_DEP_4)
	v_sub_f32_e32 v18, v12, v27
	v_fma_f32 v27, v41, 2.0, -v52
	v_fma_f32 v41, v46, 2.0, -v48
	;; [unrolled: 1-line block ×3, first 2 shown]
	v_dual_fmamk_f32 v59, v52, 0x3f3504f3, v45 :: v_dual_sub_f32 v66, v13, v18
	v_sub_f32_e32 v2, v40, v2
	v_fma_f32 v9, v9, 2.0, -v1
	v_fma_f32 v12, v12, 2.0, -v18
	s_delay_alu instid0(VALU_DEP_4)
	v_fmac_f32_e32 v59, 0xbf3504f3, v48
	v_fma_f32 v69, v13, 2.0, -v66
	v_fma_f32 v40, v40, 2.0, -v2
	v_sub_f32_e32 v2, v43, v2
	v_dual_fmac_f32 v64, v86, v63 :: v_dual_fmamk_f32 v63, v51, 0x3f3504f3, v47
	v_fma_f32 v45, v45, 2.0, -v59
	s_delay_alu instid0(VALU_DEP_4) | instskip(NEXT) | instid1(VALU_DEP_4)
	v_sub_f32_e32 v40, v14, v40
	v_fma_f32 v43, v43, 2.0, -v2
	global_inv scope:SCOPE_SE
	v_dual_fmac_f32 v63, 0x3f3504f3, v2 :: v_dual_sub_f32 v58, v25, v64
	v_sub_f32_e32 v18, v15, v40
	v_fma_f32 v14, v14, 2.0, -v40
	v_fmamk_f32 v64, v27, 0xbf3504f3, v60
	s_delay_alu instid0(VALU_DEP_4) | instskip(NEXT) | instid1(VALU_DEP_2)
	v_fma_f32 v25, v25, 2.0, -v58
	v_fmac_f32_e32 v64, 0xbf3504f3, v41
	s_delay_alu instid0(VALU_DEP_2) | instskip(SKIP_1) | instid1(VALU_DEP_2)
	v_sub_f32_e32 v25, v10, v25
	v_fma_f32 v7, v7, 2.0, -v26
	v_fma_f32 v10, v10, 2.0, -v25
	s_delay_alu instid0(VALU_DEP_2) | instskip(SKIP_1) | instid1(VALU_DEP_2)
	v_sub_f32_e32 v16, v7, v16
	v_add_f32_e32 v40, v25, v24
	v_fma_f32 v7, v7, 2.0, -v16
	v_add_f32_e32 v67, v16, v1
	v_dual_fmamk_f32 v1, v18, 0x3f3504f3, v66 :: v_dual_sub_f32 v58, v39, v58
	s_delay_alu instid0(VALU_DEP_3) | instskip(NEXT) | instid1(VALU_DEP_2)
	v_sub_f32_e32 v68, v7, v12
	v_dual_sub_f32 v12, v17, v11 :: v_dual_fmac_f32 v1, 0xbf3504f3, v40
	s_delay_alu instid0(VALU_DEP_3) | instskip(SKIP_4) | instid1(VALU_DEP_3)
	v_fma_f32 v39, v39, 2.0, -v58
	v_sub_f32_e32 v11, v10, v14
	v_add_f32_e32 v42, v26, v42
	v_fmamk_f32 v62, v2, 0x3f3504f3, v58
	v_fmamk_f32 v2, v40, 0x3f3504f3, v67
	;; [unrolled: 1-line block ×4, first 2 shown]
	s_delay_alu instid0(VALU_DEP_4) | instskip(NEXT) | instid1(VALU_DEP_3)
	v_dual_fmac_f32 v62, 0xbf3504f3, v51 :: v_dual_sub_f32 v51, v6, v9
	v_dual_fmac_f32 v2, 0x3f3504f3, v18 :: v_dual_fmac_f32 v61, 0x3f3504f3, v52
	s_delay_alu instid0(VALU_DEP_3) | instskip(NEXT) | instid1(VALU_DEP_3)
	v_fmac_f32_e32 v48, 0xbf3504f3, v46
	v_fmamk_f32 v24, v62, 0x3f6c835e, v59
	s_delay_alu instid0(VALU_DEP_2)
	v_fmamk_f32 v13, v48, 0x3ec3ef15, v64
	v_fma_f32 v26, v26, 2.0, -v42
	v_fma_f32 v71, v42, 2.0, -v61
	;; [unrolled: 1-line block ×5, first 2 shown]
	v_fmamk_f32 v65, v41, 0xbf3504f3, v26
	v_fma_f32 v41, v25, 2.0, -v40
	v_fmamk_f32 v25, v63, 0x3f6c835e, v61
	v_dual_fmamk_f32 v9, v42, 0xbec3ef15, v45 :: v_dual_fmac_f32 v24, 0xbec3ef15, v63
	s_delay_alu instid0(VALU_DEP_4)
	v_fmac_f32_e32 v65, 0x3f3504f3, v27
	v_fma_f32 v27, v15, 2.0, -v18
	v_fma_f32 v15, v17, 2.0, -v12
	v_fmamk_f32 v17, v72, 0xbf6c835e, v58
	v_fma_f32 v70, v16, 2.0, -v67
	v_fma_f32 v16, v10, 2.0, -v11
	v_sub_f32_e32 v11, v51, v11
	v_fma_f32 v44, v44, 2.0, -v47
	v_fma_f32 v60, v26, 2.0, -v65
	v_dual_fmac_f32 v25, 0x3ec3ef15, v62 :: v_dual_add_f32 v12, v68, v12
	v_fma_f32 v40, v67, 2.0, -v2
	s_delay_alu instid0(VALU_DEP_4)
	v_fmamk_f32 v52, v46, 0xbf3504f3, v44
	v_fma_f32 v46, v6, 2.0, -v51
	v_fmamk_f32 v6, v27, 0xbf3504f3, v69
	ds_store_2addr_b64 v56, v[1:2], v[24:25] offset0:94 offset1:119
	v_fma_f32 v26, v51, 2.0, -v11
	v_fmac_f32_e32 v52, 0x3f3504f3, v43
	v_fma_f32 v43, v47, 2.0, -v63
	v_fma_f32 v47, v7, 2.0, -v68
	v_fmamk_f32 v7, v41, 0xbf3504f3, v70
	v_sub_f32_e32 v15, v46, v15
	v_fma_f32 v44, v44, 2.0, -v52
	v_fmamk_f32 v10, v43, 0xbec3ef15, v71
	v_fmamk_f32 v14, v52, 0x3ec3ef15, v65
	v_fmac_f32_e32 v6, 0xbf3504f3, v41
	v_fmac_f32_e32 v7, 0x3f3504f3, v27
	v_dual_fmamk_f32 v18, v44, 0xbf6c835e, v60 :: v_dual_fmac_f32 v9, 0xbf6c835e, v43
	v_fmac_f32_e32 v10, 0x3f6c835e, v42
	v_sub_f32_e32 v16, v47, v16
	v_fmac_f32_e32 v13, 0xbf6c835e, v52
	v_fmac_f32_e32 v14, 0x3f6c835e, v48
	v_fma_f32 v41, v59, 2.0, -v24
	v_fma_f32 v42, v61, 2.0, -v25
	v_fmac_f32_e32 v17, 0xbec3ef15, v44
	v_fma_f32 v39, v66, 2.0, -v1
	v_fmac_f32_e32 v18, 0x3ec3ef15, v72
	v_fma_f32 v1, v46, 2.0, -v15
	v_fma_f32 v43, v69, 2.0, -v6
	;; [unrolled: 1-line block ×9, first 2 shown]
	ds_store_2addr_b64 v3, v[39:40], v[41:42] offset0:150 offset1:175
	ds_store_2addr_b64 v19, v[6:7], v[9:10] offset0:122 offset1:147
	v_fma_f32 v6, v58, 2.0, -v17
	v_fma_f32 v7, v60, 2.0, -v18
	ds_store_2addr_b64 v56, v[11:12], v[13:14] offset0:44 offset1:69
	ds_store_2addr_b64 v3, v[43:44], v[45:46] offset0:50 offset1:75
	;; [unrolled: 1-line block ×4, first 2 shown]
	ds_store_2addr_b64 v3, v[1:2], v[6:7] offset1:25
	global_wb scope:SCOPE_SE
	s_wait_dscnt 0x0
	s_barrier_signal -1
	s_barrier_wait -1
	global_inv scope:SCOPE_SE
	ds_load_b64 v[41:42], v54
	ds_load_2addr_b64 v[0:3], v0 offset0:44 offset1:144
	ds_load_2addr_b64 v[16:19], v5 offset0:32 offset1:107
	;; [unrolled: 1-line block ×4, first 2 shown]
	ds_load_b64 v[26:27], v49
	ds_load_2addr_b64 v[8:11], v8 offset0:113 offset1:188
	ds_load_b64 v[39:40], v50
	ds_load_b64 v[43:44], v57
	ds_load_b64 v[47:48], v33 offset:8800
	s_and_saveexec_b32 s1, s0
	s_cbranch_execz .LBB0_20
; %bb.19:
	ds_load_b64 v[24:25], v33 offset:3000
	ds_load_b64 v[20:21], v33 offset:6200
	;; [unrolled: 1-line block ×3, first 2 shown]
.LBB0_20:
	s_wait_alu 0xfffe
	s_or_b32 exec_lo, exec_lo, s1
	v_dual_mov_b32 v46, 0 :: v_dual_lshlrev_b32 v45, 1, v30
	v_lshlrev_b32_e32 v58, 1, v32
	v_lshlrev_b32_e32 v60, 1, v38
	v_lshl_add_u32 v37, v37, 3, v55
	s_delay_alu instid0(VALU_DEP_4) | instskip(SKIP_2) | instid1(VALU_DEP_3)
	v_mov_b32_e32 v61, v46
	v_lshlrev_b64_e32 v[51:52], 3, v[45:46]
	v_mov_b32_e32 v59, v46
	v_lshlrev_b64_e32 v[64:65], 3, v[60:61]
	s_delay_alu instid0(VALU_DEP_3) | instskip(NEXT) | instid1(VALU_DEP_3)
	v_add_co_u32 v51, s1, s8, v51
	v_lshlrev_b64_e32 v[62:63], 3, v[58:59]
	s_wait_alu 0xf1ff
	v_add_co_ci_u32_e64 v52, s1, s9, v52, s1
	global_load_b128 v[58:61], v[51:52], off offset:3160
	v_add_co_u32 v51, s1, s8, v62
	s_wait_alu 0xf1ff
	v_add_co_ci_u32_e64 v52, s1, s9, v63, s1
	v_add_co_u32 v66, s1, s8, v64
	v_dual_mov_b32 v63, v46 :: v_dual_lshlrev_b32 v62, 1, v36
	s_wait_alu 0xf1ff
	v_add_co_ci_u32_e64 v67, s1, s9, v65, s1
	s_delay_alu instid0(VALU_DEP_2)
	v_lshlrev_b64_e32 v[70:71], 3, v[62:63]
	s_clause 0x1
	global_load_b128 v[62:65], v[51:52], off offset:3160
	global_load_b128 v[66:69], v[66:67], off offset:3160
	v_add_nc_u32_e32 v45, 0x258, v45
	v_add_co_u32 v70, s1, s8, v70
	s_delay_alu instid0(VALU_DEP_2) | instskip(SKIP_2) | instid1(VALU_DEP_2)
	v_lshlrev_b64_e32 v[51:52], 3, v[45:46]
	s_wait_alu 0xf1ff
	v_add_co_ci_u32_e64 v71, s1, s9, v71, s1
	v_add_co_u32 v51, s1, s8, v51
	s_wait_alu 0xf1ff
	s_delay_alu instid0(VALU_DEP_3)
	v_add_co_ci_u32_e64 v52, s1, s9, v52, s1
	s_clause 0x1
	global_load_b128 v[70:73], v[70:71], off offset:3160
	global_load_b128 v[74:77], v[51:52], off offset:3160
	global_wb scope:SCOPE_SE
	s_wait_loadcnt_dscnt 0x0
	s_barrier_signal -1
	s_barrier_wait -1
	global_inv scope:SCOPE_SE
	v_dual_mul_f32 v45, v59, v3 :: v_dual_mul_f32 v52, v61, v17
	v_mul_f32_e32 v51, v59, v2
	v_mul_f32_e32 v55, v61, v16
	s_delay_alu instid0(VALU_DEP_3) | instskip(NEXT) | instid1(VALU_DEP_3)
	v_fma_f32 v2, v58, v2, -v45
	v_fmac_f32_e32 v51, v58, v3
	v_fma_f32 v3, v60, v16, -v52
	v_mul_f32_e32 v16, v63, v13
	v_dual_mul_f32 v58, v67, v14 :: v_dual_fmac_f32 v55, v60, v17
	v_mul_f32_e32 v56, v67, v15
	v_dual_mul_f32 v52, v65, v18 :: v_dual_mul_f32 v17, v63, v12
	s_delay_alu instid0(VALU_DEP_3) | instskip(SKIP_2) | instid1(VALU_DEP_4)
	v_dual_mul_f32 v59, v69, v5 :: v_dual_fmac_f32 v58, v66, v15
	v_mul_f32_e32 v60, v69, v4
	v_mul_f32_e32 v45, v65, v19
	v_fmac_f32_e32 v52, v64, v19
	v_fma_f32 v14, v66, v14, -v56
	v_fmac_f32_e32 v17, v62, v13
	v_fma_f32 v12, v62, v12, -v16
	v_fma_f32 v15, v68, v4, -v59
	v_fmac_f32_e32 v60, v68, v5
	v_fma_f32 v13, v64, v18, -v45
	v_mul_f32_e32 v61, v71, v9
	v_mul_f32_e32 v65, v7, v73
	;; [unrolled: 1-line block ×5, first 2 shown]
	s_delay_alu instid0(VALU_DEP_4)
	v_fma_f32 v16, v6, v72, -v65
	v_dual_add_f32 v6, v41, v2 :: v_dual_mul_f32 v63, v71, v8
	v_mul_f32_e32 v71, v10, v75
	v_fma_f32 v4, v70, v8, -v61
	v_fma_f32 v5, v10, v74, -v69
	v_sub_f32_e32 v8, v51, v55
	v_add_f32_e32 v10, v51, v55
	v_fma_f32 v18, v47, v76, -v73
	v_fmac_f32_e32 v67, v7, v72
	v_dual_add_f32 v7, v2, v3 :: v_dual_sub_f32 v62, v4, v16
	v_mul_f32_e32 v75, v47, v77
	v_fmac_f32_e32 v71, v11, v74
	v_sub_f32_e32 v11, v2, v3
	v_add_f32_e32 v2, v6, v3
	v_dual_fmac_f32 v63, v70, v9 :: v_dual_add_f32 v56, v4, v16
	v_fma_f32 v41, -0.5, v7, v41
	v_dual_add_f32 v9, v42, v51 :: v_dual_fmac_f32 v42, -0.5, v10
	v_dual_add_f32 v7, v12, v13 :: v_dual_add_f32 v10, v17, v52
	v_dual_add_f32 v64, v5, v18 :: v_dual_fmac_f32 v75, v48, v76
	s_delay_alu instid0(VALU_DEP_3)
	v_dual_add_f32 v6, v43, v12 :: v_dual_add_f32 v3, v9, v55
	v_add_f32_e32 v9, v44, v17
	v_dual_sub_f32 v47, v58, v60 :: v_dual_add_f32 v48, v40, v58
	v_dual_add_f32 v51, v58, v60 :: v_dual_sub_f32 v58, v63, v67
	v_sub_f32_e32 v19, v17, v52
	v_dual_sub_f32 v17, v12, v13 :: v_dual_add_f32 v12, v39, v14
	v_add_f32_e32 v59, v27, v63
	v_add_f32_e32 v61, v63, v67
	;; [unrolled: 1-line block ×3, first 2 shown]
	v_dual_add_f32 v45, v14, v15 :: v_dual_fmac_f32 v44, -0.5, v10
	v_sub_f32_e32 v55, v14, v15
	v_add_f32_e32 v14, v26, v4
	v_add_f32_e32 v66, v1, v71
	v_fma_f32 v43, -0.5, v7, v43
	v_add_f32_e32 v68, v71, v75
	v_fma_f32 v26, -0.5, v56, v26
	v_dual_add_f32 v10, v14, v16 :: v_dual_sub_f32 v65, v71, v75
	s_delay_alu instid0(VALU_DEP_4)
	v_fmamk_f32 v14, v19, 0x3f5db3d7, v43
	v_fmac_f32_e32 v40, -0.5, v51
	v_fmamk_f32 v4, v8, 0x3f5db3d7, v41
	v_fma_f32 v0, -0.5, v64, v0
	v_dual_fmac_f32 v41, 0xbf5db3d7, v8 :: v_dual_add_f32 v8, v12, v15
	v_add_f32_e32 v12, v63, v18
	v_fma_f32 v39, -0.5, v45, v39
	v_fmac_f32_e32 v1, -0.5, v68
	v_fmamk_f32 v15, v17, 0xbf5db3d7, v44
	v_dual_fmac_f32 v44, 0x3f5db3d7, v17 :: v_dual_sub_f32 v69, v5, v18
	v_dual_fmamk_f32 v18, v58, 0x3f5db3d7, v26 :: v_dual_fmac_f32 v27, -0.5, v61
	v_fmamk_f32 v17, v55, 0xbf5db3d7, v40
	v_fmac_f32_e32 v40, 0x3f5db3d7, v55
	v_fmamk_f32 v5, v11, 0xbf5db3d7, v42
	v_fmac_f32_e32 v42, 0x3f5db3d7, v11
	v_dual_add_f32 v6, v6, v13 :: v_dual_add_f32 v7, v9, v52
	v_dual_add_f32 v9, v48, v60 :: v_dual_fmamk_f32 v48, v69, 0xbf5db3d7, v1
	v_add_f32_e32 v11, v59, v67
	v_add_f32_e32 v13, v66, v75
	v_fmac_f32_e32 v43, 0xbf5db3d7, v19
	v_fmamk_f32 v16, v47, 0x3f5db3d7, v39
	v_dual_fmac_f32 v39, 0xbf5db3d7, v47 :: v_dual_fmac_f32 v26, 0xbf5db3d7, v58
	v_fmamk_f32 v19, v62, 0xbf5db3d7, v27
	v_fmac_f32_e32 v27, 0x3f5db3d7, v62
	v_fmamk_f32 v47, v65, 0x3f5db3d7, v0
	v_fmac_f32_e32 v0, 0xbf5db3d7, v65
	v_fmac_f32_e32 v1, 0x3f5db3d7, v69
	ds_store_b64 v33, v[2:3]
	ds_store_b64 v33, v[4:5] offset:3200
	ds_store_b64 v33, v[41:42] offset:6400
	ds_store_b64 v57, v[6:7]
	ds_store_b64 v57, v[14:15] offset:3200
	ds_store_b64 v57, v[43:44] offset:6400
	;; [unrolled: 3-line block ×4, first 2 shown]
	ds_store_b64 v33, v[12:13] offset:2400
	ds_store_b64 v37, v[47:48] offset:5600
	;; [unrolled: 1-line block ×3, first 2 shown]
	s_and_saveexec_b32 s1, s0
	s_cbranch_execz .LBB0_22
; %bb.21:
	v_mov_b32_e32 v0, 0x177
	s_delay_alu instid0(VALU_DEP_1) | instskip(NEXT) | instid1(VALU_DEP_1)
	v_cndmask_b32_e64 v0, 0xffffffe7, v0, s0
	v_add_lshl_u32 v45, v30, v0, 1
	s_delay_alu instid0(VALU_DEP_1) | instskip(NEXT) | instid1(VALU_DEP_1)
	v_lshlrev_b64_e32 v[0:1], 3, v[45:46]
	v_add_co_u32 v0, s0, s8, v0
	s_wait_alu 0xf1ff
	s_delay_alu instid0(VALU_DEP_2) | instskip(SKIP_4) | instid1(VALU_DEP_2)
	v_add_co_ci_u32_e64 v1, s0, s9, v1, s0
	global_load_b128 v[0:3], v[0:1], off offset:3160
	s_wait_loadcnt 0x0
	v_mul_f32_e32 v5, v20, v1
	v_dual_mul_f32 v4, v21, v1 :: v_dual_mul_f32 v1, v23, v3
	v_dual_mul_f32 v6, v22, v3 :: v_dual_fmac_f32 v5, v21, v0
	s_delay_alu instid0(VALU_DEP_2) | instskip(NEXT) | instid1(VALU_DEP_2)
	v_fma_f32 v3, v20, v0, -v4
	v_fmac_f32_e32 v6, v23, v2
	s_delay_alu instid0(VALU_DEP_4) | instskip(NEXT) | instid1(VALU_DEP_3)
	v_fma_f32 v2, v22, v2, -v1
	v_dual_add_f32 v8, v25, v5 :: v_dual_add_f32 v9, v24, v3
	s_delay_alu instid0(VALU_DEP_2) | instskip(NEXT) | instid1(VALU_DEP_4)
	v_sub_f32_e32 v4, v3, v2
	v_add_f32_e32 v0, v5, v6
	v_add_f32_e32 v7, v3, v2
	s_delay_alu instid0(VALU_DEP_4) | instskip(NEXT) | instid1(VALU_DEP_3)
	v_add_f32_e32 v2, v9, v2
	v_fma_f32 v1, -0.5, v0, v25
	v_sub_f32_e32 v10, v5, v6
	s_delay_alu instid0(VALU_DEP_4) | instskip(SKIP_1) | instid1(VALU_DEP_4)
	v_fma_f32 v0, -0.5, v7, v24
	v_add_f32_e32 v3, v8, v6
	v_fmamk_f32 v5, v4, 0x3f5db3d7, v1
	s_delay_alu instid0(VALU_DEP_3)
	v_dual_fmac_f32 v1, 0xbf5db3d7, v4 :: v_dual_fmamk_f32 v4, v10, 0xbf5db3d7, v0
	v_fmac_f32_e32 v0, 0x3f5db3d7, v10
	ds_store_b64 v33, v[2:3] offset:3000
	ds_store_b64 v33, v[0:1] offset:6200
	;; [unrolled: 1-line block ×3, first 2 shown]
.LBB0_22:
	s_wait_alu 0xfffe
	s_or_b32 exec_lo, exec_lo, s1
	global_wb scope:SCOPE_SE
	s_wait_dscnt 0x0
	s_barrier_signal -1
	s_barrier_wait -1
	global_inv scope:SCOPE_SE
	ds_load_b64 v[4:5], v54
	v_sub_nc_u32_e32 v6, v53, v31
	s_mov_b32 s1, exec_lo
                                        ; implicit-def: $vgpr0
                                        ; implicit-def: $vgpr7
                                        ; implicit-def: $vgpr8
                                        ; implicit-def: $vgpr2_vgpr3
	v_cmpx_ne_u32_e32 0, v30
	s_wait_alu 0xfffe
	s_xor_b32 s1, exec_lo, s1
	s_cbranch_execz .LBB0_24
; %bb.23:
	ds_load_b64 v[2:3], v6 offset:9600
	s_wait_dscnt 0x0
	v_dual_mov_b32 v31, 0 :: v_dual_add_f32 v8, v3, v5
	s_delay_alu instid0(VALU_DEP_1) | instskip(SKIP_2) | instid1(VALU_DEP_2)
	v_lshlrev_b64_e32 v[0:1], 3, v[30:31]
	v_dual_sub_f32 v7, v4, v2 :: v_dual_add_f32 v2, v2, v4
	v_sub_f32_e32 v3, v5, v3
	v_mul_f32_e32 v5, 0.5, v7
	s_delay_alu instid0(VALU_DEP_4)
	v_add_co_u32 v0, s0, s8, v0
	s_wait_alu 0xf1ff
	v_add_co_ci_u32_e64 v1, s0, s9, v1, s0
	v_mul_f32_e32 v3, 0.5, v3
	global_load_b64 v[0:1], v[0:1], off offset:9560
	s_wait_loadcnt 0x0
	v_dual_mul_f32 v9, 0.5, v8 :: v_dual_mul_f32 v4, v1, v5
	s_delay_alu instid0(VALU_DEP_1) | instskip(SKIP_1) | instid1(VALU_DEP_3)
	v_fma_f32 v8, v9, v1, v3
	v_fma_f32 v1, v9, v1, -v3
	v_fma_f32 v7, 0.5, v2, v4
	v_fma_f32 v2, v2, 0.5, -v4
	s_delay_alu instid0(VALU_DEP_4) | instskip(NEXT) | instid1(VALU_DEP_4)
	v_fma_f32 v8, -v0, v5, v8
	v_fma_f32 v1, -v0, v5, v1
                                        ; implicit-def: $vgpr4_vgpr5
	s_delay_alu instid0(VALU_DEP_4) | instskip(NEXT) | instid1(VALU_DEP_4)
	v_fmac_f32_e32 v7, v0, v9
	v_fma_f32 v0, -v0, v9, v2
	v_dual_mov_b32 v2, v30 :: v_dual_mov_b32 v3, v31
.LBB0_24:
	s_wait_alu 0xfffe
	s_and_not1_saveexec_b32 s0, s1
	s_cbranch_execz .LBB0_26
; %bb.25:
	ds_load_b32 v1, v53 offset:4804
	s_wait_dscnt 0x1
	v_dual_add_f32 v7, v4, v5 :: v_dual_mov_b32 v2, 0
	v_dual_sub_f32 v0, v4, v5 :: v_dual_mov_b32 v3, 0
	v_mov_b32_e32 v8, 0
	s_wait_dscnt 0x0
	v_xor_b32_e32 v4, 0x80000000, v1
	v_mov_b32_e32 v1, 0
	ds_store_b32 v53, v4 offset:4804
.LBB0_26:
	s_wait_alu 0xfffe
	s_or_b32 exec_lo, exec_lo, s0
	v_mov_b32_e32 v33, 0
	v_lshlrev_b64_e32 v[2:3], 3, v[2:3]
	v_lshl_add_u32 v19, v32, 3, v53
	s_wait_dscnt 0x0
	s_delay_alu instid0(VALU_DEP_3) | instskip(SKIP_2) | instid1(VALU_DEP_2)
	v_lshlrev_b64_e32 v[4:5], 3, v[32:33]
	v_mov_b32_e32 v39, v33
	v_mov_b32_e32 v37, v33
	v_lshlrev_b64_e32 v[9:10], 3, v[38:39]
	s_delay_alu instid0(VALU_DEP_4) | instskip(SKIP_3) | instid1(VALU_DEP_4)
	v_add_co_u32 v4, s0, s8, v4
	s_wait_alu 0xf1ff
	v_add_co_ci_u32_e64 v5, s0, s9, v5, s0
	v_lshlrev_b64_e32 v[11:12], 3, v[36:37]
	v_add_co_u32 v9, s0, s8, v9
	global_load_b64 v[4:5], v[4:5], off offset:9560
	s_wait_alu 0xf1ff
	v_add_co_ci_u32_e64 v10, s0, s9, v10, s0
	v_add_co_u32 v11, s0, s8, v11
	s_wait_alu 0xf1ff
	v_add_co_ci_u32_e64 v12, s0, s9, v12, s0
	global_load_b64 v[9:10], v[9:10], off offset:9560
	s_add_nc_u64 s[0:1], s[8:9], 0x2558
	global_load_b64 v[11:12], v[11:12], off offset:9560
	s_wait_alu 0xfffe
	v_add_co_u32 v2, s0, s0, v2
	s_wait_alu 0xf1ff
	v_add_co_ci_u32_e64 v3, s0, s1, v3, s0
	s_clause 0x2
	global_load_b64 v[13:14], v[2:3], off offset:2400
	global_load_b64 v[15:16], v[2:3], off offset:3000
	;; [unrolled: 1-line block ×3, first 2 shown]
	ds_store_2addr_b32 v54, v7, v8 offset1:1
	ds_store_b64 v6, v[0:1] offset:9600
	global_load_b64 v[0:1], v[2:3], off offset:4200
	ds_load_b64 v[2:3], v19
	ds_load_b64 v[7:8], v6 offset:9000
	s_wait_dscnt 0x0
	v_dual_sub_f32 v20, v2, v7 :: v_dual_add_f32 v21, v3, v8
	v_dual_add_f32 v2, v2, v7 :: v_dual_sub_f32 v3, v3, v8
	s_delay_alu instid0(VALU_DEP_2) | instskip(NEXT) | instid1(VALU_DEP_2)
	v_mul_f32_e32 v8, 0.5, v20
	v_dual_mul_f32 v20, 0.5, v21 :: v_dual_mul_f32 v3, 0.5, v3
	s_wait_loadcnt 0x6
	s_delay_alu instid0(VALU_DEP_2) | instskip(NEXT) | instid1(VALU_DEP_2)
	v_mul_f32_e32 v7, v5, v8
	v_fma_f32 v21, v20, v5, v3
	v_fma_f32 v3, v20, v5, -v3
	s_delay_alu instid0(VALU_DEP_3) | instskip(SKIP_1) | instid1(VALU_DEP_4)
	v_fma_f32 v5, 0.5, v2, v7
	v_fma_f32 v2, v2, 0.5, -v7
	v_fma_f32 v7, -v4, v8, v21
	s_delay_alu instid0(VALU_DEP_4)
	v_fma_f32 v3, -v4, v8, v3
	v_lshl_add_u32 v8, v38, 3, v53
	v_fmac_f32_e32 v5, v4, v20
	v_fma_f32 v2, -v4, v20, v2
	ds_store_2addr_b32 v19, v5, v7 offset1:1
	ds_store_b64 v6, v[2:3] offset:9000
	ds_load_b64 v[2:3], v8
	ds_load_b64 v[4:5], v6 offset:8400
	s_wait_dscnt 0x0
	v_sub_f32_e32 v7, v2, v4
	v_add_f32_e32 v19, v3, v5
	v_dual_sub_f32 v3, v3, v5 :: v_dual_add_f32 v2, v2, v4
	s_delay_alu instid0(VALU_DEP_3) | instskip(NEXT) | instid1(VALU_DEP_3)
	v_mul_f32_e32 v5, 0.5, v7
	v_mul_f32_e32 v7, 0.5, v19
	s_wait_loadcnt 0x5
	s_delay_alu instid0(VALU_DEP_2) | instskip(NEXT) | instid1(VALU_DEP_1)
	v_dual_mul_f32 v3, 0.5, v3 :: v_dual_mul_f32 v4, v10, v5
	v_fma_f32 v19, v7, v10, v3
	v_fma_f32 v3, v7, v10, -v3
	s_delay_alu instid0(VALU_DEP_3) | instskip(SKIP_1) | instid1(VALU_DEP_4)
	v_fma_f32 v10, 0.5, v2, v4
	v_fma_f32 v2, v2, 0.5, -v4
	v_fma_f32 v4, -v9, v5, v19
	s_delay_alu instid0(VALU_DEP_4) | instskip(NEXT) | instid1(VALU_DEP_4)
	v_fma_f32 v3, -v9, v5, v3
	v_fmac_f32_e32 v10, v9, v7
	s_delay_alu instid0(VALU_DEP_4)
	v_fma_f32 v2, -v9, v7, v2
	v_lshl_add_u32 v7, v36, 3, v53
	ds_store_2addr_b32 v8, v10, v4 offset1:1
	ds_store_b64 v6, v[2:3] offset:8400
	ds_load_b64 v[2:3], v7
	ds_load_b64 v[4:5], v6 offset:7800
	s_wait_dscnt 0x0
	v_dual_sub_f32 v8, v2, v4 :: v_dual_add_f32 v9, v3, v5
	v_dual_sub_f32 v3, v3, v5 :: v_dual_add_f32 v2, v2, v4
	s_delay_alu instid0(VALU_DEP_2) | instskip(SKIP_1) | instid1(VALU_DEP_1)
	v_dual_mul_f32 v5, 0.5, v8 :: v_dual_mul_f32 v8, 0.5, v9
	s_wait_loadcnt 0x4
	v_dual_mul_f32 v3, 0.5, v3 :: v_dual_mul_f32 v4, v12, v5
	s_delay_alu instid0(VALU_DEP_1) | instskip(SKIP_1) | instid1(VALU_DEP_3)
	v_fma_f32 v9, v8, v12, v3
	v_fma_f32 v3, v8, v12, -v3
	v_fma_f32 v10, 0.5, v2, v4
	v_fma_f32 v2, v2, 0.5, -v4
	s_delay_alu instid0(VALU_DEP_4) | instskip(NEXT) | instid1(VALU_DEP_4)
	v_fma_f32 v4, -v11, v5, v9
	v_fma_f32 v3, -v11, v5, v3
	s_delay_alu instid0(VALU_DEP_4) | instskip(NEXT) | instid1(VALU_DEP_4)
	v_fmac_f32_e32 v10, v11, v8
	v_fma_f32 v2, -v11, v8, v2
	ds_store_2addr_b32 v7, v10, v4 offset1:1
	ds_store_b64 v6, v[2:3] offset:7800
	ds_load_b64 v[2:3], v54 offset:2400
	ds_load_b64 v[4:5], v6 offset:7200
	s_wait_dscnt 0x0
	v_dual_sub_f32 v7, v2, v4 :: v_dual_add_nc_u32 v10, 0x800, v54
	v_add_f32_e32 v8, v3, v5
	v_dual_sub_f32 v3, v3, v5 :: v_dual_add_f32 v2, v2, v4
	s_delay_alu instid0(VALU_DEP_3) | instskip(NEXT) | instid1(VALU_DEP_3)
	v_mul_f32_e32 v5, 0.5, v7
	v_mul_f32_e32 v7, 0.5, v8
	s_wait_loadcnt 0x3
	s_delay_alu instid0(VALU_DEP_2) | instskip(NEXT) | instid1(VALU_DEP_1)
	v_dual_mul_f32 v3, 0.5, v3 :: v_dual_mul_f32 v4, v14, v5
	v_fma_f32 v8, v7, v14, v3
	v_fma_f32 v3, v7, v14, -v3
	s_delay_alu instid0(VALU_DEP_3) | instskip(SKIP_1) | instid1(VALU_DEP_4)
	v_fma_f32 v9, 0.5, v2, v4
	v_fma_f32 v2, v2, 0.5, -v4
	v_fma_f32 v4, -v13, v5, v8
	s_delay_alu instid0(VALU_DEP_4) | instskip(NEXT) | instid1(VALU_DEP_4)
	v_fma_f32 v3, -v13, v5, v3
	v_fmac_f32_e32 v9, v13, v7
	s_delay_alu instid0(VALU_DEP_4)
	v_fma_f32 v2, -v13, v7, v2
	ds_store_2addr_b32 v10, v9, v4 offset0:88 offset1:89
	ds_store_b64 v6, v[2:3] offset:7200
	ds_load_b64 v[2:3], v54 offset:3000
	ds_load_b64 v[4:5], v6 offset:6600
	s_wait_dscnt 0x0
	v_dual_sub_f32 v7, v2, v4 :: v_dual_add_f32 v8, v3, v5
	v_dual_sub_f32 v3, v3, v5 :: v_dual_add_f32 v2, v2, v4
	s_delay_alu instid0(VALU_DEP_2) | instskip(NEXT) | instid1(VALU_DEP_3)
	v_mul_f32_e32 v5, 0.5, v7
	v_mul_f32_e32 v7, 0.5, v8
	s_wait_loadcnt 0x2
	s_delay_alu instid0(VALU_DEP_2) | instskip(NEXT) | instid1(VALU_DEP_1)
	v_dual_mul_f32 v3, 0.5, v3 :: v_dual_mul_f32 v4, v16, v5
	v_fma_f32 v8, v7, v16, v3
	v_fma_f32 v3, v7, v16, -v3
	s_delay_alu instid0(VALU_DEP_3) | instskip(SKIP_1) | instid1(VALU_DEP_4)
	v_fma_f32 v9, 0.5, v2, v4
	v_fma_f32 v2, v2, 0.5, -v4
	v_fma_f32 v4, -v15, v5, v8
	s_delay_alu instid0(VALU_DEP_4) | instskip(NEXT) | instid1(VALU_DEP_4)
	v_fma_f32 v3, -v15, v5, v3
	v_fmac_f32_e32 v9, v15, v7
	s_delay_alu instid0(VALU_DEP_4)
	v_fma_f32 v2, -v15, v7, v2
	ds_store_2addr_b32 v10, v9, v4 offset0:238 offset1:239
	ds_store_b64 v6, v[2:3] offset:6600
	ds_load_b64 v[2:3], v54 offset:3600
	ds_load_b64 v[4:5], v6 offset:6000
	s_wait_dscnt 0x0
	v_dual_sub_f32 v7, v2, v4 :: v_dual_add_f32 v8, v3, v5
	v_dual_sub_f32 v3, v3, v5 :: v_dual_add_f32 v2, v2, v4
	s_delay_alu instid0(VALU_DEP_2) | instskip(NEXT) | instid1(VALU_DEP_3)
	v_mul_f32_e32 v5, 0.5, v7
	v_mul_f32_e32 v7, 0.5, v8
	s_wait_loadcnt 0x1
	s_delay_alu instid0(VALU_DEP_2) | instskip(NEXT) | instid1(VALU_DEP_1)
	v_dual_mul_f32 v3, 0.5, v3 :: v_dual_mul_f32 v4, v18, v5
	v_fma_f32 v8, v7, v18, v3
	v_fma_f32 v3, v7, v18, -v3
	s_delay_alu instid0(VALU_DEP_3)
	v_fma_f32 v9, 0.5, v2, v4
	v_fma_f32 v2, v2, 0.5, -v4
	v_add_nc_u32_e32 v4, 0xc00, v54
	v_fma_f32 v8, -v17, v5, v8
	v_fma_f32 v3, -v17, v5, v3
	v_fmac_f32_e32 v9, v17, v7
	v_fma_f32 v2, -v17, v7, v2
	ds_store_2addr_b32 v4, v9, v8 offset0:132 offset1:133
	ds_store_b64 v6, v[2:3] offset:6000
	ds_load_b64 v[2:3], v54 offset:4200
	ds_load_b64 v[4:5], v6 offset:5400
	s_wait_dscnt 0x0
	v_dual_sub_f32 v7, v2, v4 :: v_dual_add_f32 v8, v3, v5
	v_dual_sub_f32 v3, v3, v5 :: v_dual_add_f32 v2, v2, v4
	s_delay_alu instid0(VALU_DEP_2) | instskip(NEXT) | instid1(VALU_DEP_3)
	v_mul_f32_e32 v5, 0.5, v7
	v_mul_f32_e32 v7, 0.5, v8
	s_wait_loadcnt 0x0
	s_delay_alu instid0(VALU_DEP_2) | instskip(NEXT) | instid1(VALU_DEP_1)
	v_dual_mul_f32 v3, 0.5, v3 :: v_dual_mul_f32 v4, v1, v5
	v_fma_f32 v8, v7, v1, v3
	v_fma_f32 v1, v7, v1, -v3
	s_delay_alu instid0(VALU_DEP_3)
	v_fma_f32 v3, 0.5, v2, v4
	v_fma_f32 v2, v2, 0.5, -v4
	v_add_nc_u32_e32 v4, 0x1000, v54
	v_fma_f32 v8, -v0, v5, v8
	v_fma_f32 v1, -v0, v5, v1
	v_fmac_f32_e32 v3, v0, v7
	v_fma_f32 v0, -v0, v7, v2
	ds_store_2addr_b32 v4, v3, v8 offset0:26 offset1:27
	ds_store_b64 v6, v[0:1] offset:5400
	global_wb scope:SCOPE_SE
	s_wait_dscnt 0x0
	s_barrier_signal -1
	s_barrier_wait -1
	global_inv scope:SCOPE_SE
	s_and_saveexec_b32 s0, vcc_lo
	s_cbranch_execz .LBB0_29
; %bb.27:
	v_mul_lo_u32 v3, s3, v34
	v_mul_lo_u32 v4, s2, v35
	v_mad_co_u64_u32 v[0:1], null, s2, v34, 0
	v_dual_mov_b32 v31, v33 :: v_dual_add_nc_u32 v32, 0x4b, v30
	v_lshlrev_b64_e32 v[11:12], 3, v[28:29]
	v_lshl_add_u32 v2, v30, 3, v53
	s_delay_alu instid0(VALU_DEP_3)
	v_lshlrev_b64_e32 v[13:14], 3, v[30:31]
	v_add3_u32 v1, v1, v4, v3
	v_lshlrev_b64_e32 v[15:16], 3, v[32:33]
	ds_load_2addr_b64 v[3:6], v2 offset1:75
	v_add_nc_u32_e32 v32, 0x96, v30
	ds_load_2addr_b64 v[7:10], v2 offset0:150 offset1:225
	v_lshlrev_b64_e32 v[0:1], 3, v[0:1]
	v_add_nc_u32_e32 v21, 0x800, v2
	v_add_nc_u32_e32 v22, 0x2000, v2
	v_lshlrev_b64_e32 v[17:18], 3, v[32:33]
	v_add_nc_u32_e32 v32, 0xe1, v30
	v_add_co_u32 v0, vcc_lo, s6, v0
	s_wait_alu 0xfffd
	v_add_co_ci_u32_e32 v1, vcc_lo, s7, v1, vcc_lo
	s_delay_alu instid0(VALU_DEP_2) | instskip(SKIP_1) | instid1(VALU_DEP_2)
	v_add_co_u32 v0, vcc_lo, v0, v11
	s_wait_alu 0xfffd
	v_add_co_ci_u32_e32 v1, vcc_lo, v1, v12, vcc_lo
	s_delay_alu instid0(VALU_DEP_2) | instskip(SKIP_1) | instid1(VALU_DEP_2)
	v_add_co_u32 v11, vcc_lo, v0, v13
	s_wait_alu 0xfffd
	v_add_co_ci_u32_e32 v12, vcc_lo, v1, v14, vcc_lo
	v_add_co_u32 v13, vcc_lo, v0, v15
	s_wait_alu 0xfffd
	v_add_co_ci_u32_e32 v14, vcc_lo, v1, v16, vcc_lo
	v_lshlrev_b64_e32 v[15:16], 3, v[32:33]
	v_add_co_u32 v17, vcc_lo, v0, v17
	v_add_nc_u32_e32 v32, 0x12c, v30
	s_wait_alu 0xfffd
	v_add_co_ci_u32_e32 v18, vcc_lo, v1, v18, vcc_lo
	s_delay_alu instid0(VALU_DEP_4)
	v_add_co_u32 v15, vcc_lo, v0, v15
	s_wait_alu 0xfffd
	v_add_co_ci_u32_e32 v16, vcc_lo, v1, v16, vcc_lo
	v_lshlrev_b64_e32 v[19:20], 3, v[32:33]
	v_add_nc_u32_e32 v32, 0x177, v30
	s_wait_dscnt 0x1
	s_clause 0x1
	global_store_b64 v[11:12], v[3:4], off
	global_store_b64 v[13:14], v[5:6], off
	s_wait_dscnt 0x0
	s_clause 0x1
	global_store_b64 v[17:18], v[7:8], off
	global_store_b64 v[15:16], v[9:10], off
	v_add_nc_u32_e32 v7, 0xc00, v2
	ds_load_2addr_b64 v[3:6], v21 offset0:44 offset1:119
	v_add_nc_u32_e32 v21, 0x1000, v2
	v_lshlrev_b64_e32 v[11:12], 3, v[32:33]
	v_add_nc_u32_e32 v32, 0x1c2, v30
	ds_load_2addr_b64 v[7:10], v7 offset0:66 offset1:141
	v_add_co_u32 v13, vcc_lo, v0, v19
	s_wait_alu 0xfffd
	v_add_co_ci_u32_e32 v14, vcc_lo, v1, v20, vcc_lo
	v_lshlrev_b64_e32 v[15:16], 3, v[32:33]
	v_add_nc_u32_e32 v32, 0x20d, v30
	v_add_co_u32 v11, vcc_lo, v0, v11
	s_wait_alu 0xfffd
	v_add_co_ci_u32_e32 v12, vcc_lo, v1, v12, vcc_lo
	s_delay_alu instid0(VALU_DEP_3) | instskip(SKIP_4) | instid1(VALU_DEP_4)
	v_lshlrev_b64_e32 v[17:18], 3, v[32:33]
	v_add_co_u32 v15, vcc_lo, v0, v15
	v_add_nc_u32_e32 v32, 0x258, v30
	s_wait_alu 0xfffd
	v_add_co_ci_u32_e32 v16, vcc_lo, v1, v16, vcc_lo
	v_add_co_u32 v17, vcc_lo, v0, v17
	s_wait_alu 0xfffd
	v_add_co_ci_u32_e32 v18, vcc_lo, v1, v18, vcc_lo
	v_lshlrev_b64_e32 v[19:20], 3, v[32:33]
	v_add_nc_u32_e32 v32, 0x2a3, v30
	s_wait_dscnt 0x1
	s_clause 0x1
	global_store_b64 v[13:14], v[3:4], off
	global_store_b64 v[11:12], v[5:6], off
	s_wait_dscnt 0x0
	s_clause 0x1
	global_store_b64 v[15:16], v[7:8], off
	global_store_b64 v[17:18], v[9:10], off
	v_add_nc_u32_e32 v7, 0x1400, v2
	ds_load_2addr_b64 v[3:6], v21 offset0:88 offset1:163
	v_add_nc_u32_e32 v21, 0x1800, v2
	v_lshlrev_b64_e32 v[11:12], 3, v[32:33]
	v_add_nc_u32_e32 v32, 0x2ee, v30
	ds_load_2addr_b64 v[7:10], v7 offset0:110 offset1:185
	v_add_co_u32 v13, vcc_lo, v0, v19
	s_wait_alu 0xfffd
	v_add_co_ci_u32_e32 v14, vcc_lo, v1, v20, vcc_lo
	v_lshlrev_b64_e32 v[15:16], 3, v[32:33]
	v_add_nc_u32_e32 v32, 0x339, v30
	v_add_co_u32 v11, vcc_lo, v0, v11
	s_wait_alu 0xfffd
	v_add_co_ci_u32_e32 v12, vcc_lo, v1, v12, vcc_lo
	s_delay_alu instid0(VALU_DEP_3) | instskip(SKIP_4) | instid1(VALU_DEP_3)
	v_lshlrev_b64_e32 v[17:18], 3, v[32:33]
	v_add_nc_u32_e32 v32, 0x384, v30
	v_add_co_u32 v15, vcc_lo, v0, v15
	s_wait_alu 0xfffd
	v_add_co_ci_u32_e32 v16, vcc_lo, v1, v16, vcc_lo
	v_lshlrev_b64_e32 v[19:20], 3, v[32:33]
	v_add_nc_u32_e32 v32, 0x3cf, v30
	v_add_co_u32 v17, vcc_lo, v0, v17
	s_wait_alu 0xfffd
	v_add_co_ci_u32_e32 v18, vcc_lo, v1, v18, vcc_lo
	s_wait_dscnt 0x1
	s_clause 0x1
	global_store_b64 v[13:14], v[3:4], off
	global_store_b64 v[11:12], v[5:6], off
	s_wait_dscnt 0x0
	s_clause 0x1
	global_store_b64 v[15:16], v[7:8], off
	global_store_b64 v[17:18], v[9:10], off
	v_lshlrev_b64_e32 v[11:12], 3, v[32:33]
	v_add_nc_u32_e32 v32, 0x41a, v30
	ds_load_2addr_b64 v[3:6], v21 offset0:132 offset1:207
	ds_load_2addr_b64 v[7:10], v22 offset0:26 offset1:101
	v_add_co_u32 v13, vcc_lo, v0, v19
	v_lshlrev_b64_e32 v[15:16], 3, v[32:33]
	v_add_nc_u32_e32 v32, 0x465, v30
	s_wait_alu 0xfffd
	v_add_co_ci_u32_e32 v14, vcc_lo, v1, v20, vcc_lo
	v_add_co_u32 v11, vcc_lo, v0, v11
	s_delay_alu instid0(VALU_DEP_3)
	v_lshlrev_b64_e32 v[17:18], 3, v[32:33]
	s_wait_alu 0xfffd
	v_add_co_ci_u32_e32 v12, vcc_lo, v1, v12, vcc_lo
	v_add_co_u32 v15, vcc_lo, v0, v15
	s_wait_alu 0xfffd
	v_add_co_ci_u32_e32 v16, vcc_lo, v1, v16, vcc_lo
	v_add_co_u32 v17, vcc_lo, v0, v17
	s_wait_alu 0xfffd
	v_add_co_ci_u32_e32 v18, vcc_lo, v1, v18, vcc_lo
	v_cmp_eq_u32_e32 vcc_lo, 0x4a, v30
	s_wait_dscnt 0x1
	s_clause 0x1
	global_store_b64 v[13:14], v[3:4], off
	global_store_b64 v[11:12], v[5:6], off
	s_wait_dscnt 0x0
	s_clause 0x1
	global_store_b64 v[15:16], v[7:8], off
	global_store_b64 v[17:18], v[9:10], off
	s_and_b32 exec_lo, exec_lo, vcc_lo
	s_cbranch_execz .LBB0_29
; %bb.28:
	ds_load_b64 v[2:3], v2 offset:9008
	s_wait_dscnt 0x0
	global_store_b64 v[0:1], v[2:3], off offset:9600
.LBB0_29:
	s_nop 0
	s_sendmsg sendmsg(MSG_DEALLOC_VGPRS)
	s_endpgm
	.section	.rodata,"a",@progbits
	.p2align	6, 0x0
	.amdhsa_kernel fft_rtc_fwd_len1200_factors_5_5_16_3_wgs_225_tpt_75_halfLds_sp_op_CI_CI_unitstride_sbrr_R2C_dirReg
		.amdhsa_group_segment_fixed_size 0
		.amdhsa_private_segment_fixed_size 0
		.amdhsa_kernarg_size 104
		.amdhsa_user_sgpr_count 2
		.amdhsa_user_sgpr_dispatch_ptr 0
		.amdhsa_user_sgpr_queue_ptr 0
		.amdhsa_user_sgpr_kernarg_segment_ptr 1
		.amdhsa_user_sgpr_dispatch_id 0
		.amdhsa_user_sgpr_private_segment_size 0
		.amdhsa_wavefront_size32 1
		.amdhsa_uses_dynamic_stack 0
		.amdhsa_enable_private_segment 0
		.amdhsa_system_sgpr_workgroup_id_x 1
		.amdhsa_system_sgpr_workgroup_id_y 0
		.amdhsa_system_sgpr_workgroup_id_z 0
		.amdhsa_system_sgpr_workgroup_info 0
		.amdhsa_system_vgpr_workitem_id 0
		.amdhsa_next_free_vgpr 109
		.amdhsa_next_free_sgpr 39
		.amdhsa_reserve_vcc 1
		.amdhsa_float_round_mode_32 0
		.amdhsa_float_round_mode_16_64 0
		.amdhsa_float_denorm_mode_32 3
		.amdhsa_float_denorm_mode_16_64 3
		.amdhsa_fp16_overflow 0
		.amdhsa_workgroup_processor_mode 1
		.amdhsa_memory_ordered 1
		.amdhsa_forward_progress 0
		.amdhsa_round_robin_scheduling 0
		.amdhsa_exception_fp_ieee_invalid_op 0
		.amdhsa_exception_fp_denorm_src 0
		.amdhsa_exception_fp_ieee_div_zero 0
		.amdhsa_exception_fp_ieee_overflow 0
		.amdhsa_exception_fp_ieee_underflow 0
		.amdhsa_exception_fp_ieee_inexact 0
		.amdhsa_exception_int_div_zero 0
	.end_amdhsa_kernel
	.text
.Lfunc_end0:
	.size	fft_rtc_fwd_len1200_factors_5_5_16_3_wgs_225_tpt_75_halfLds_sp_op_CI_CI_unitstride_sbrr_R2C_dirReg, .Lfunc_end0-fft_rtc_fwd_len1200_factors_5_5_16_3_wgs_225_tpt_75_halfLds_sp_op_CI_CI_unitstride_sbrr_R2C_dirReg
                                        ; -- End function
	.section	.AMDGPU.csdata,"",@progbits
; Kernel info:
; codeLenInByte = 12360
; NumSgprs: 41
; NumVgprs: 109
; ScratchSize: 0
; MemoryBound: 0
; FloatMode: 240
; IeeeMode: 1
; LDSByteSize: 0 bytes/workgroup (compile time only)
; SGPRBlocks: 5
; VGPRBlocks: 13
; NumSGPRsForWavesPerEU: 41
; NumVGPRsForWavesPerEU: 109
; Occupancy: 12
; WaveLimiterHint : 1
; COMPUTE_PGM_RSRC2:SCRATCH_EN: 0
; COMPUTE_PGM_RSRC2:USER_SGPR: 2
; COMPUTE_PGM_RSRC2:TRAP_HANDLER: 0
; COMPUTE_PGM_RSRC2:TGID_X_EN: 1
; COMPUTE_PGM_RSRC2:TGID_Y_EN: 0
; COMPUTE_PGM_RSRC2:TGID_Z_EN: 0
; COMPUTE_PGM_RSRC2:TIDIG_COMP_CNT: 0
	.text
	.p2alignl 7, 3214868480
	.fill 96, 4, 3214868480
	.type	__hip_cuid_cabd244a6d65a98c,@object ; @__hip_cuid_cabd244a6d65a98c
	.section	.bss,"aw",@nobits
	.globl	__hip_cuid_cabd244a6d65a98c
__hip_cuid_cabd244a6d65a98c:
	.byte	0                               ; 0x0
	.size	__hip_cuid_cabd244a6d65a98c, 1

	.ident	"AMD clang version 19.0.0git (https://github.com/RadeonOpenCompute/llvm-project roc-6.4.0 25133 c7fe45cf4b819c5991fe208aaa96edf142730f1d)"
	.section	".note.GNU-stack","",@progbits
	.addrsig
	.addrsig_sym __hip_cuid_cabd244a6d65a98c
	.amdgpu_metadata
---
amdhsa.kernels:
  - .args:
      - .actual_access:  read_only
        .address_space:  global
        .offset:         0
        .size:           8
        .value_kind:     global_buffer
      - .offset:         8
        .size:           8
        .value_kind:     by_value
      - .actual_access:  read_only
        .address_space:  global
        .offset:         16
        .size:           8
        .value_kind:     global_buffer
      - .actual_access:  read_only
        .address_space:  global
        .offset:         24
        .size:           8
        .value_kind:     global_buffer
      - .actual_access:  read_only
        .address_space:  global
        .offset:         32
        .size:           8
        .value_kind:     global_buffer
      - .offset:         40
        .size:           8
        .value_kind:     by_value
      - .actual_access:  read_only
        .address_space:  global
        .offset:         48
        .size:           8
        .value_kind:     global_buffer
      - .actual_access:  read_only
        .address_space:  global
        .offset:         56
        .size:           8
        .value_kind:     global_buffer
      - .offset:         64
        .size:           4
        .value_kind:     by_value
      - .actual_access:  read_only
        .address_space:  global
        .offset:         72
        .size:           8
        .value_kind:     global_buffer
      - .actual_access:  read_only
        .address_space:  global
        .offset:         80
        .size:           8
        .value_kind:     global_buffer
      - .actual_access:  read_only
        .address_space:  global
        .offset:         88
        .size:           8
        .value_kind:     global_buffer
      - .actual_access:  write_only
        .address_space:  global
        .offset:         96
        .size:           8
        .value_kind:     global_buffer
    .group_segment_fixed_size: 0
    .kernarg_segment_align: 8
    .kernarg_segment_size: 104
    .language:       OpenCL C
    .language_version:
      - 2
      - 0
    .max_flat_workgroup_size: 225
    .name:           fft_rtc_fwd_len1200_factors_5_5_16_3_wgs_225_tpt_75_halfLds_sp_op_CI_CI_unitstride_sbrr_R2C_dirReg
    .private_segment_fixed_size: 0
    .sgpr_count:     41
    .sgpr_spill_count: 0
    .symbol:         fft_rtc_fwd_len1200_factors_5_5_16_3_wgs_225_tpt_75_halfLds_sp_op_CI_CI_unitstride_sbrr_R2C_dirReg.kd
    .uniform_work_group_size: 1
    .uses_dynamic_stack: false
    .vgpr_count:     109
    .vgpr_spill_count: 0
    .wavefront_size: 32
    .workgroup_processor_mode: 1
amdhsa.target:   amdgcn-amd-amdhsa--gfx1201
amdhsa.version:
  - 1
  - 2
...

	.end_amdgpu_metadata
